;; amdgpu-corpus repo=ROCm/rocFFT kind=compiled arch=gfx1201 opt=O3
	.text
	.amdgcn_target "amdgcn-amd-amdhsa--gfx1201"
	.amdhsa_code_object_version 6
	.protected	bluestein_single_fwd_len2025_dim1_half_op_CI_CI ; -- Begin function bluestein_single_fwd_len2025_dim1_half_op_CI_CI
	.globl	bluestein_single_fwd_len2025_dim1_half_op_CI_CI
	.p2align	8
	.type	bluestein_single_fwd_len2025_dim1_half_op_CI_CI,@function
bluestein_single_fwd_len2025_dim1_half_op_CI_CI: ; @bluestein_single_fwd_len2025_dim1_half_op_CI_CI
; %bb.0:
	s_load_b128 s[16:19], s[0:1], 0x28
	v_mul_u32_u24_e32 v1, 0x1e6, v0
	s_mov_b32 s2, exec_lo
	v_mov_b32_e32 v25, 0
	s_delay_alu instid0(VALU_DEP_2) | instskip(NEXT) | instid1(VALU_DEP_1)
	v_lshrrev_b32_e32 v1, 16, v1
	v_add_nc_u32_e32 v24, ttmp9, v1
	s_wait_kmcnt 0x0
	s_delay_alu instid0(VALU_DEP_1)
	v_cmpx_gt_u64_e64 s[16:17], v[24:25]
	s_cbranch_execz .LBB0_2
; %bb.1:
	s_clause 0x1
	s_load_b128 s[8:11], s[0:1], 0x18
	s_load_b128 s[4:7], s[0:1], 0x0
	v_mul_lo_u16 v1, 0x87, v1
	s_movk_i32 s20, 0xed04
	s_mov_b32 s21, -1
	s_mov_b32 s22, 0xc0898b71
	s_mov_b32 s23, 0x3f402e85
	v_sub_nc_u16 v38, v0, v1
	s_load_b64 s[0:1], s[0:1], 0x38
	s_delay_alu instid0(VALU_DEP_1)
	v_and_b32_e32 v66, 0xffff, v38
	v_and_b32_e32 v25, 0xff, v38
	s_wait_kmcnt 0x0
	s_load_b128 s[12:15], s[8:9], 0x0
	s_wait_kmcnt 0x0
	v_mad_co_u64_u32 v[0:1], null, s14, v24, 0
	v_mad_co_u64_u32 v[2:3], null, s12, v66, 0
	s_mul_u64 s[2:3], s[12:13], 0xa8c
	s_mul_u64 s[8:9], s[12:13], s[20:21]
	s_delay_alu instid0(VALU_DEP_1) | instskip(NEXT) | instid1(VALU_DEP_1)
	v_mad_co_u64_u32 v[4:5], null, s15, v24, v[1:2]
	v_mov_b32_e32 v1, v4
	s_delay_alu instid0(VALU_DEP_3) | instskip(SKIP_2) | instid1(VALU_DEP_4)
	v_mad_co_u64_u32 v[5:6], null, s13, v66, v[3:4]
	v_lshlrev_b32_e32 v55, 2, v66
	v_add_co_u32 v41, null, 0x21c, v66
	v_lshlrev_b64_e32 v[0:1], 2, v[0:1]
	v_add_co_u32 v39, null, 0x10e, v66
	v_mov_b32_e32 v3, v5
	s_clause 0x5
	global_load_b32 v63, v55, s[4:5] offset:3780
	global_load_b32 v70, v55, s[4:5]
	global_load_b32 v67, v55, s[4:5] offset:540
	global_load_b32 v64, v55, s[4:5] offset:1080
	;; [unrolled: 1-line block ×4, first 2 shown]
	v_add_co_u32 v0, vcc_lo, s18, v0
	v_lshlrev_b64_e32 v[2:3], 2, v[2:3]
	v_add_co_ci_u32_e32 v1, vcc_lo, s19, v1, vcc_lo
	s_clause 0x8
	global_load_b32 v68, v55, s[4:5] offset:3240
	global_load_b32 v71, v55, s[4:5] offset:2700
	;; [unrolled: 1-line block ×9, first 2 shown]
	v_add_nc_u32_e32 v90, 0xc00, v55
	v_add_co_u32 v0, vcc_lo, v0, v2
	s_wait_alu 0xfffd
	v_add_co_ci_u32_e32 v1, vcc_lo, v1, v3, vcc_lo
	v_add_nc_u32_e32 v94, 0x1600, v55
	v_add_nc_u32_e32 v77, 0x1000, v55
	;; [unrolled: 1-line block ×3, first 2 shown]
	global_load_b32 v11, v[0:1], off
	v_add_co_u32 v0, vcc_lo, v0, s2
	s_wait_alu 0xfffd
	v_add_co_ci_u32_e32 v1, vcc_lo, s3, v1, vcc_lo
	v_add_nc_u32_e32 v80, 0x1800, v55
	s_delay_alu instid0(VALU_DEP_3) | instskip(SKIP_1) | instid1(VALU_DEP_3)
	v_add_co_u32 v2, vcc_lo, v0, s2
	s_wait_alu 0xfffd
	v_add_co_ci_u32_e32 v3, vcc_lo, s3, v1, vcc_lo
	global_load_b32 v14, v[0:1], off
	v_add_nc_u32_e32 v91, 0x1400, v55
	v_add_co_u32 v37, null, 0x195, v66
	global_load_b32 v13, v[2:3], off
	v_add_co_u32 v0, vcc_lo, v2, s8
	s_wait_alu 0xfffd
	v_add_co_ci_u32_e32 v1, vcc_lo, s9, v3, vcc_lo
	v_add_nc_u32_e32 v93, 0x1a00, v55
	s_delay_alu instid0(VALU_DEP_3) | instskip(SKIP_1) | instid1(VALU_DEP_3)
	v_add_co_u32 v2, vcc_lo, v0, s2
	s_wait_alu 0xfffd
	v_add_co_ci_u32_e32 v3, vcc_lo, s3, v1, vcc_lo
	s_clause 0x1
	global_load_b32 v12, v[0:1], off
	global_load_b32 v10, v[2:3], off
	v_add_co_u32 v0, vcc_lo, v2, s2
	s_wait_alu 0xfffd
	v_add_co_ci_u32_e32 v1, vcc_lo, s3, v3, vcc_lo
	v_and_b32_e32 v30, 0xffff, v39
	v_mul_u32_u24_e32 v19, 3, v41
	v_and_b32_e32 v27, 0xffff, v37
	global_load_b32 v9, v[0:1], off
	v_add_co_u32 v0, vcc_lo, v0, s8
	s_wait_alu 0xfffd
	v_add_co_ci_u32_e32 v1, vcc_lo, s9, v1, vcc_lo
	v_lshlrev_b32_e32 v166, 2, v19
	s_delay_alu instid0(VALU_DEP_3) | instskip(SKIP_1) | instid1(VALU_DEP_3)
	v_add_co_u32 v2, vcc_lo, v0, s2
	s_wait_alu 0xfffd
	v_add_co_ci_u32_e32 v3, vcc_lo, s3, v1, vcc_lo
	global_load_b32 v8, v[0:1], off
	v_add_co_u32 v0, vcc_lo, v2, s2
	s_wait_alu 0xfffd
	v_add_co_ci_u32_e32 v1, vcc_lo, s3, v3, vcc_lo
	global_load_b32 v7, v[2:3], off
	;; [unrolled: 4-line block ×3, first 2 shown]
	global_load_b32 v5, v[2:3], off
	v_add_co_u32 v0, vcc_lo, v2, s2
	s_wait_alu 0xfffd
	v_add_co_ci_u32_e32 v1, vcc_lo, s3, v3, vcc_lo
	v_mul_u32_u24_e32 v19, 0xaaab, v27
	s_delay_alu instid0(VALU_DEP_3) | instskip(SKIP_1) | instid1(VALU_DEP_3)
	v_add_co_u32 v2, vcc_lo, v0, s2
	s_wait_alu 0xfffd
	v_add_co_ci_u32_e32 v3, vcc_lo, s3, v1, vcc_lo
	global_load_b32 v4, v[0:1], off
	v_add_co_u32 v0, vcc_lo, v2, s8
	s_wait_alu 0xfffd
	v_add_co_ci_u32_e32 v1, vcc_lo, s9, v3, vcc_lo
	global_load_b32 v3, v[2:3], off
	v_add_co_u32 v15, vcc_lo, v0, s2
	s_wait_alu 0xfffd
	v_add_co_ci_u32_e32 v16, vcc_lo, s3, v1, vcc_lo
	global_load_b32 v0, v[0:1], off
	v_add_co_u32 v17, vcc_lo, v15, s2
	s_wait_alu 0xfffd
	v_add_co_ci_u32_e32 v18, vcc_lo, s3, v16, vcc_lo
	global_load_b32 v2, v[15:16], off
	global_load_b32 v1, v[17:18], off
	s_load_b128 s[16:19], s[10:11], 0x0
	v_mul_lo_u16 v15, v38, 3
	v_add_co_u32 v40, s2, 0x87, v66
	s_wait_alu 0xf1ff
	v_add_co_ci_u32_e64 v26, null, 0, 0, s2
	v_cmp_gt_u16_e32 vcc_lo, 0x5a, v38
	v_add_nc_u32_e32 v83, 0x400, v55
	v_and_b32_e32 v16, 0xffff, v15
	v_and_b32_e32 v28, 0xffff, v41
	;; [unrolled: 1-line block ×3, first 2 shown]
	v_mul_u32_u24_e32 v18, 3, v37
	v_mul_lo_u16 v15, 0xab, v25
	v_lshlrev_b32_e32 v165, 2, v16
	v_mul_u32_u24_e32 v16, 3, v40
	v_mul_u32_u24_e32 v20, 0xaaab, v28
	v_lshlrev_b32_e32 v167, 2, v18
	v_mul_u32_u24_e32 v18, 0xaaab, v30
	v_lshrrev_b32_e32 v19, 17, v19
	v_lshlrev_b32_e32 v169, 2, v16
	v_mul_u32_u24_e32 v16, 0xaaab, v29
	v_lshrrev_b32_e32 v20, 17, v20
	v_lshrrev_b32_e32 v18, 17, v18
	v_mul_u32_u24_e32 v17, 3, v39
	v_lshrrev_b16 v15, 9, v15
	v_lshrrev_b32_e32 v16, 17, v16
	v_mul_lo_u16 v21, v20, 3
	v_mul_lo_u16 v23, v18, 3
	;; [unrolled: 1-line block ×3, first 2 shown]
	v_lshlrev_b32_e32 v168, 2, v17
	v_mul_lo_u16 v22, v16, 3
	v_sub_nc_u16 v21, v41, v21
	v_mul_lo_u16 v17, v15, 3
	v_sub_nc_u16 v23, v39, v23
	v_sub_nc_u16 v31, v37, v31
	;; [unrolled: 1-line block ×3, first 2 shown]
	v_lshlrev_b16 v33, 1, v21
	v_sub_nc_u16 v17, v38, v17
	v_mul_u32_u24_e32 v27, 0x91a3, v27
	s_delay_alu instid0(VALU_DEP_4) | instskip(NEXT) | instid1(VALU_DEP_4)
	v_lshlrev_b16 v34, 1, v22
	v_and_b32_e32 v33, 0xffff, v33
	s_delay_alu instid0(VALU_DEP_4) | instskip(NEXT) | instid1(VALU_DEP_3)
	v_and_b32_e32 v17, 0xff, v17
	v_and_b32_e32 v34, 0xffff, v34
	s_delay_alu instid0(VALU_DEP_3) | instskip(NEXT) | instid1(VALU_DEP_3)
	v_lshlrev_b32_e32 v33, 2, v33
	v_lshlrev_b32_e32 v32, 3, v17
	s_delay_alu instid0(VALU_DEP_3)
	v_lshlrev_b32_e32 v34, 2, v34
	s_wait_loadcnt 0x1c
	v_lshrrev_b32_e32 v89, 16, v70
	s_wait_loadcnt 0x1b
	v_lshrrev_b32_e32 v86, 16, v67
	;; [unrolled: 2-line block ×3, first 2 shown]
	v_lshrrev_b32_e32 v81, 16, v63
	s_wait_loadcnt 0x19
	v_lshrrev_b32_e32 v78, 16, v61
	s_wait_loadcnt 0x18
	;; [unrolled: 2-line block ×4, first 2 shown]
	v_lshrrev_b32_e32 v84, 16, v65
	v_lshrrev_b32_e32 v85, 16, v68
	;; [unrolled: 1-line block ×3, first 2 shown]
	s_wait_loadcnt 0x12
	v_lshrrev_b32_e32 v79, 16, v62
	s_wait_loadcnt 0x11
	v_lshrrev_b32_e32 v75, 16, v59
	v_lshrrev_b32_e32 v74, 16, v58
	s_wait_loadcnt 0xf
	v_lshrrev_b32_e32 v73, 16, v57
	;; [unrolled: 3-line block ×3, first 2 shown]
	v_mul_f16_e32 v36, v89, v11
	s_delay_alu instid0(VALU_DEP_2) | instskip(NEXT) | instid1(VALU_DEP_2)
	v_mul_f16_e32 v42, v89, v35
	v_fma_f16 v35, v70, v35, -v36
	s_wait_loadcnt 0xd
	v_lshrrev_b32_e32 v43, 16, v14
	v_mul_f16_e32 v44, v88, v14
	v_fmac_f16_e32 v42, v70, v11
	s_wait_loadcnt 0xc
	v_lshrrev_b32_e32 v36, 16, v13
	v_mul_f16_e32 v11, v88, v43
	v_fma_f16 v43, v71, v43, -v44
	v_mul_f16_e32 v44, v87, v13
	v_pack_b32_f16 v35, v42, v35
	s_delay_alu instid0(VALU_DEP_4) | instskip(SKIP_1) | instid1(VALU_DEP_4)
	v_fmac_f16_e32 v11, v71, v14
	v_mul_f16_e32 v14, v87, v36
	v_fma_f16 v36, v69, v36, -v44
	s_wait_loadcnt 0xb
	v_lshrrev_b32_e32 v42, 16, v12
	v_mul_f16_e32 v44, v86, v12
	v_pack_b32_f16 v11, v11, v43
	v_fmac_f16_e32 v14, v69, v13
	s_wait_loadcnt 0xa
	v_lshrrev_b32_e32 v43, 16, v10
	v_mul_f16_e32 v13, v86, v42
	v_mul_f16_e32 v45, v85, v10
	v_fma_f16 v42, v67, v42, -v44
	v_pack_b32_f16 v14, v14, v36
	s_wait_loadcnt 0x9
	v_mul_f16_e32 v44, v84, v9
	v_fmac_f16_e32 v13, v67, v12
	v_mul_f16_e32 v12, v85, v43
	v_fma_f16 v36, v68, v43, -v45
	v_lshrrev_b32_e32 v43, 16, v9
	ds_store_b32 v55, v11 offset:2700
	ds_store_b32 v55, v14 offset:5400
	v_pack_b32_f16 v11, v13, v42
	v_fmac_f16_e32 v12, v68, v10
	v_mul_f16_e32 v10, v84, v43
	s_wait_loadcnt 0x8
	v_lshrrev_b32_e32 v14, 16, v8
	v_fma_f16 v13, v65, v43, -v44
	v_mul_f16_e32 v42, v82, v8
	ds_store_2addr_b32 v55, v35, v11 offset1:135
	v_pack_b32_f16 v11, v12, v36
	v_fmac_f16_e32 v10, v65, v9
	v_mul_f16_e32 v9, v82, v14
	s_wait_loadcnt 0x7
	v_lshrrev_b32_e32 v12, 16, v7
	v_fma_f16 v14, v64, v14, -v42
	v_mul_f16_e32 v35, v81, v7
	v_pack_b32_f16 v10, v10, v13
	v_fmac_f16_e32 v9, v64, v8
	v_mul_f16_e32 v8, v81, v12
	s_wait_loadcnt 0x6
	v_lshrrev_b32_e32 v13, 16, v6
	v_fma_f16 v12, v63, v12, -v35
	s_wait_loadcnt 0x5
	v_mul_f16_e32 v36, v78, v5
	v_pack_b32_f16 v9, v9, v14
	v_fmac_f16_e32 v8, v63, v7
	v_mul_f16_e32 v7, v79, v13
	v_lshrrev_b32_e32 v14, 16, v5
	v_mul_f16_e32 v35, v79, v6
	s_delay_alu instid0(VALU_DEP_4) | instskip(NEXT) | instid1(VALU_DEP_4)
	v_pack_b32_f16 v8, v8, v12
	v_fmac_f16_e32 v7, v62, v6
	s_delay_alu instid0(VALU_DEP_4)
	v_mul_f16_e32 v6, v78, v14
	v_fma_f16 v12, v61, v14, -v36
	s_wait_loadcnt 0x4
	v_lshrrev_b32_e32 v14, 16, v4
	v_fma_f16 v13, v62, v13, -v35
	ds_store_2addr_b32 v90, v11, v8 offset0:42 offset1:177
	v_fmac_f16_e32 v6, v61, v5
	s_wait_loadcnt 0x3
	v_lshrrev_b32_e32 v5, 16, v3
	v_mul_f16_e32 v8, v76, v14
	v_pack_b32_f16 v7, v7, v13
	v_mul_f16_e32 v13, v75, v3
	v_pack_b32_f16 v6, v6, v12
	v_mul_f16_e32 v12, v75, v5
	v_mul_f16_e32 v35, v76, v4
	v_fmac_f16_e32 v8, v60, v4
	s_wait_loadcnt 0x2
	v_lshrrev_b32_e32 v4, 16, v0
	v_fma_f16 v5, v59, v5, -v13
	v_mul_f16_e32 v13, v74, v0
	v_fmac_f16_e32 v12, v59, v3
	s_wait_loadcnt 0x1
	v_lshrrev_b32_e32 v3, 16, v2
	v_fma_f16 v11, v60, v14, -v35
	s_wait_loadcnt 0x0
	v_lshrrev_b32_e32 v35, 16, v1
	v_mul_f16_e32 v14, v74, v4
	v_fma_f16 v4, v58, v4, -v13
	v_mul_f16_e32 v13, v73, v2
	v_mul_f16_e32 v36, v73, v3
	;; [unrolled: 1-line block ×4, first 2 shown]
	v_fmac_f16_e32 v14, v58, v0
	v_fma_f16 v0, v57, v3, -v13
	v_fmac_f16_e32 v36, v57, v2
	v_fma_f16 v2, v56, v35, -v42
	v_fmac_f16_e32 v43, v56, v1
	v_pack_b32_f16 v4, v14, v4
	v_pack_b32_f16 v1, v8, v11
	;; [unrolled: 1-line block ×5, first 2 shown]
	ds_store_2addr_b32 v94, v10, v7 offset0:77 offset1:212
	ds_store_2addr_b32 v83, v9, v6 offset0:14 offset1:149
	ds_store_b32 v55, v4 offset:2160
	ds_store_2addr_b32 v77, v1, v0 offset0:56 offset1:191
	ds_store_2addr_b32 v93, v3, v2 offset0:91 offset1:226
	global_wb scope:SCOPE_SE
	s_wait_dscnt 0x0
	s_wait_kmcnt 0x0
	s_barrier_signal -1
	s_barrier_wait -1
	global_inv scope:SCOPE_SE
	ds_load_2addr_b32 v[0:1], v55 offset1:135
	ds_load_2addr_b32 v[2:3], v90 offset0:42 offset1:177
	ds_load_2addr_b32 v[4:5], v91 offset0:70 offset1:205
	;; [unrolled: 1-line block ×6, first 2 shown]
	ds_load_b32 v36, v55 offset:7560
	v_lshlrev_b16 v14, 1, v23
	v_lshlrev_b16 v35, 1, v31
	global_wb scope:SCOPE_SE
	s_wait_dscnt 0x0
	s_barrier_signal -1
	s_barrier_wait -1
	v_and_b32_e32 v14, 0xffff, v14
	v_and_b32_e32 v35, 0xffff, v35
	global_inv scope:SCOPE_SE
	v_lshlrev_b32_e32 v14, 2, v14
	v_pk_add_f16 v42, v1, v2
	v_pk_add_f16 v43, v2, v5
	v_pk_add_f16 v2, v2, v5 neg_lo:[0,1] neg_hi:[0,1]
	v_pk_add_f16 v44, v6, v3
	v_pk_add_f16 v45, v3, v8
	v_pk_add_f16 v3, v3, v8 neg_lo:[0,1] neg_hi:[0,1]
	v_pk_add_f16 v46, v7, v10
	v_pk_add_f16 v47, v10, v9
	v_pk_add_f16 v10, v10, v9 neg_lo:[0,1] neg_hi:[0,1]
	v_pk_add_f16 v49, v0, v13
	v_pk_add_f16 v50, v13, v4
	v_pk_add_f16 v13, v13, v4 neg_lo:[0,1] neg_hi:[0,1]
	v_pk_add_f16 v48, v12, v11
	v_pk_add_f16 v51, v11, v36
	v_pk_add_f16 v11, v11, v36 neg_lo:[0,1] neg_hi:[0,1]
	v_pk_fma_f16 v1, v43, 0.5, v1 op_sel_hi:[1,0,1] neg_lo:[1,0,0] neg_hi:[1,0,0]
	v_pk_mul_f16 v2, 0x3aee, v2 op_sel_hi:[0,1]
	v_pk_fma_f16 v6, v45, 0.5, v6 op_sel_hi:[1,0,1] neg_lo:[1,0,0] neg_hi:[1,0,0]
	v_pk_mul_f16 v3, 0x3aee, v3 op_sel_hi:[0,1]
	;; [unrolled: 2-line block ×4, first 2 shown]
	v_pk_add_f16 v5, v42, v5
	v_pk_fma_f16 v12, v51, 0.5, v12 op_sel_hi:[1,0,1] neg_lo:[1,0,0] neg_hi:[1,0,0]
	v_pk_mul_f16 v11, 0x3aee, v11 op_sel_hi:[0,1]
	v_pk_add_f16 v42, v1, v2 op_sel:[0,1] op_sel_hi:[1,0]
	v_pk_add_f16 v1, v1, v2 op_sel:[0,1] op_sel_hi:[1,0] neg_lo:[0,1] neg_hi:[0,1]
	v_pk_add_f16 v2, v6, v3 op_sel:[0,1] op_sel_hi:[1,0]
	v_pk_add_f16 v3, v6, v3 op_sel:[0,1] op_sel_hi:[1,0] neg_lo:[0,1] neg_hi:[0,1]
	;; [unrolled: 2-line block ×4, first 2 shown]
	v_pk_add_f16 v4, v49, v4
	v_pk_add_f16 v13, v12, v11 op_sel:[0,1] op_sel_hi:[1,0]
	v_pk_add_f16 v11, v12, v11 op_sel:[0,1] op_sel_hi:[1,0] neg_lo:[0,1] neg_hi:[0,1]
	v_bfi_b32 v12, 0xffff, v42, v1
	v_bfi_b32 v43, 0xffff, v10, v0
	;; [unrolled: 1-line block ×4, first 2 shown]
	v_pk_add_f16 v8, v44, v8
	v_bfi_b32 v42, 0xffff, v2, v3
	v_pk_add_f16 v9, v46, v9
	v_pk_add_f16 v36, v48, v36
	v_bfi_b32 v2, 0xffff, v3, v2
	v_bfi_b32 v3, 0xffff, v6, v7
	;; [unrolled: 1-line block ×5, first 2 shown]
	ds_store_2addr_b32 v165, v4, v43 offset1:1
	ds_store_b32 v165, v0 offset:8
	ds_store_2addr_b32 v169, v5, v12 offset1:1
	ds_store_b32 v169, v1 offset:8
	;; [unrolled: 2-line block ×5, first 2 shown]
	global_wb scope:SCOPE_SE
	s_wait_dscnt 0x0
	s_barrier_signal -1
	s_barrier_wait -1
	global_inv scope:SCOPE_SE
	global_load_b64 v[51:52], v33, s[6:7]
	v_lshlrev_b32_e32 v0, 2, v35
	s_clause 0x3
	global_load_b64 v[45:46], v32, s[6:7]
	global_load_b64 v[47:48], v34, s[6:7]
	;; [unrolled: 1-line block ×4, first 2 shown]
	v_mul_lo_u16 v0, v25, 57
	v_mul_u32_u24_e32 v1, 0xe38f, v29
	v_and_b32_e32 v3, 0xffff, v15
	s_delay_alu instid0(VALU_DEP_3) | instskip(SKIP_1) | instid1(VALU_DEP_4)
	v_lshrrev_b16 v32, 9, v0
	v_mul_u32_u24_e32 v0, 0xe38f, v30
	v_lshrrev_b32_e32 v35, 19, v1
	s_delay_alu instid0(VALU_DEP_4) | instskip(NEXT) | instid1(VALU_DEP_4)
	v_mul_u32_u24_e32 v1, 9, v3
	v_mul_lo_u16 v2, v32, 9
	s_delay_alu instid0(VALU_DEP_4) | instskip(NEXT) | instid1(VALU_DEP_4)
	v_lshrrev_b32_e32 v34, 19, v0
	v_mul_lo_u16 v3, v35, 9
	s_delay_alu instid0(VALU_DEP_4)
	v_add_lshl_u32 v126, v1, v17, 2
	v_mad_u16 v1, v18, 9, v23
	v_sub_nc_u16 v0, v38, v2
	v_mul_lo_u16 v2, v34, 9
	v_sub_nc_u16 v42, v40, v3
	v_mad_u16 v3, v20, 9, v21
	v_and_b32_e32 v7, 0xffff, v1
	v_and_b32_e32 v33, 0xff, v0
	v_sub_nc_u16 v36, v39, v2
	v_mad_u16 v0, v16, 9, v22
	v_mad_u16 v2, v19, 9, v31
	v_lshlrev_b16 v5, 4, v42
	v_and_b32_e32 v11, 0xffff, v3
	v_lshlrev_b16 v4, 4, v36
	v_and_b32_e32 v6, 0xffff, v0
	v_and_b32_e32 v10, 0xffff, v2
	;; [unrolled: 1-line block ×3, first 2 shown]
	ds_load_2addr_b32 v[0:1], v77 offset0:56 offset1:191
	ds_load_b32 v16, v55 offset:7560
	ds_load_2addr_b32 v[2:3], v92 offset0:28 offset1:163
	v_and_b32_e32 v14, 0xffff, v4
	ds_load_2addr_b32 v[4:5], v91 offset0:70 offset1:205
	v_lshlrev_b32_e32 v127, 2, v6
	v_lshlrev_b32_e32 v128, 2, v7
	ds_load_2addr_b32 v[6:7], v90 offset0:42 offset1:177
	ds_load_2addr_b32 v[8:9], v55 offset1:135
	v_lshlrev_b32_e32 v130, 2, v10
	v_lshlrev_b32_e32 v129, 2, v11
	ds_load_2addr_b32 v[10:11], v80 offset0:84 offset1:219
	ds_load_2addr_b32 v[12:13], v83 offset0:14 offset1:149
	v_add_co_u32 v14, s2, s6, v14
	s_wait_alu 0xf1ff
	v_add_co_ci_u32_e64 v15, null, s7, 0, s2
	global_wb scope:SCOPE_SE
	s_wait_loadcnt_dscnt 0x0
	s_barrier_signal -1
	s_barrier_wait -1
	global_inv scope:SCOPE_SE
	v_lshlrev_b32_e32 v43, 4, v33
	v_lshrrev_b32_e32 v17, 16, v1
	v_lshrrev_b32_e32 v18, 16, v16
	;; [unrolled: 1-line block ×25, first 2 shown]
	v_mul_f16_e64 v102, v17, v153
	v_mul_f16_e64 v103, v18, v154
	;; [unrolled: 1-line block ×20, first 2 shown]
	v_fma_f16 v1, v1, v51, -v102
	v_fma_f16 v16, v16, v52, -v103
	v_fmac_f16_e32 v104, v17, v51
	v_fmac_f16_e32 v105, v18, v52
	v_fma_f16 v3, v3, v45, -v106
	v_fma_f16 v4, v4, v46, -v108
	v_fmac_f16_e32 v110, v23, v48
	v_fmac_f16_e32 v112, v31, v47
	;; [unrolled: 1-line block ×4, first 2 shown]
	v_fma_f16 v5, v5, v48, -v109
	v_fma_f16 v6, v6, v47, -v113
	;; [unrolled: 1-line block ×4, first 2 shown]
	v_fmac_f16_e32 v115, v96, v49
	v_fmac_f16_e32 v120, v98, v50
	;; [unrolled: 1-line block ×4, first 2 shown]
	v_fma_f16 v0, v0, v53, -v116
	v_fma_f16 v11, v11, v54, -v119
	v_add_f16_e32 v17, v1, v16
	v_add_f16_e32 v21, v104, v105
	v_sub_f16_e32 v22, v104, v105
	v_add_f16_e32 v23, v19, v104
	v_add_f16_e32 v97, v112, v110
	;; [unrolled: 1-line block ×9, first 2 shown]
	v_sub_f16_e32 v99, v112, v110
	v_add_f16_e32 v112, v117, v121
	v_add_f16_e32 v113, v100, v117
	v_sub_f16_e32 v114, v117, v121
	v_add_f16_e32 v116, v7, v10
	v_add_f16_e32 v117, v12, v7
	;; [unrolled: 1-line block ×5, first 2 shown]
	v_sub_f16_e32 v6, v6, v5
	v_sub_f16_e32 v3, v3, v4
	;; [unrolled: 1-line block ×3, first 2 shown]
	v_add_f16_e32 v108, v0, v11
	v_fmac_f16_e32 v2, -0.5, v17
	v_fmac_f16_e32 v44, -0.5, v97
	v_fma_f16 v8, -0.5, v102, v8
	v_add_f16_e32 v4, v103, v4
	v_add_f16_e32 v17, v104, v111
	v_fmac_f16_e32 v95, -0.5, v106
	v_sub_f16_e32 v1, v1, v16
	v_fmac_f16_e32 v19, -0.5, v21
	v_fmac_f16_e32 v9, -0.5, v31
	v_add_f16_e32 v109, v13, v0
	v_sub_f16_e32 v0, v0, v11
	v_sub_f16_e32 v115, v115, v120
	;; [unrolled: 1-line block ×3, first 2 shown]
	v_add_f16_e32 v5, v96, v5
	v_add_f16_e32 v21, v98, v110
	v_fmac_f16_e32 v100, -0.5, v112
	v_fma_f16 v12, -0.5, v116, v12
	v_add_f16_e32 v31, v118, v120
	v_add_f16_e32 v10, v117, v10
	v_fmac_f16_e32 v101, -0.5, v119
	v_fmac_f16_e32 v13, -0.5, v108
	v_fmamk_f16 v97, v6, 0xbaee, v44
	v_fmac_f16_e32 v44, 0x3aee, v6
	v_pack_b32_f16 v4, v4, v17
	v_fmamk_f16 v6, v107, 0x3aee, v8
	v_fmamk_f16 v17, v3, 0xbaee, v95
	v_fmac_f16_e32 v8, 0xbaee, v107
	v_fmac_f16_e32 v95, 0x3aee, v3
	v_add_f16_e32 v16, v18, v16
	v_add_f16_e32 v18, v23, v105
	v_fmamk_f16 v23, v22, 0x3aee, v2
	v_fmac_f16_e32 v2, 0xbaee, v22
	v_fmamk_f16 v22, v1, 0xbaee, v19
	v_fmac_f16_e32 v19, 0x3aee, v1
	;; [unrolled: 2-line block ×3, first 2 shown]
	v_pack_b32_f16 v3, v5, v21
	v_fmamk_f16 v21, v0, 0xbaee, v100
	v_fmac_f16_e32 v100, 0x3aee, v0
	v_pack_b32_f16 v0, v10, v31
	v_fmamk_f16 v10, v115, 0x3aee, v12
	v_fmamk_f16 v31, v7, 0xbaee, v101
	v_add_f16_e32 v11, v109, v11
	v_add_f16_e32 v96, v113, v121
	v_fmamk_f16 v5, v114, 0x3aee, v13
	v_fmac_f16_e32 v13, 0xbaee, v114
	v_fmac_f16_e32 v12, 0xbaee, v115
	;; [unrolled: 1-line block ×3, first 2 shown]
	v_pack_b32_f16 v6, v6, v17
	v_pack_b32_f16 v8, v8, v95
	;; [unrolled: 1-line block ×12, first 2 shown]
	ds_store_2addr_b32 v126, v4, v6 offset1:3
	ds_store_b32 v126, v8 offset:24
	ds_store_2addr_b32 v127, v3, v1 offset1:3
	ds_store_b32 v127, v9 offset:24
	;; [unrolled: 2-line block ×5, first 2 shown]
	v_add_co_u32 v0, s2, s6, v20
	s_wait_alu 0xf1ff
	v_add_co_ci_u32_e64 v1, null, s7, 0, s2
	global_wb scope:SCOPE_SE
	s_wait_dscnt 0x0
	s_barrier_signal -1
	s_barrier_wait -1
	global_inv scope:SCOPE_SE
	s_clause 0x2
	global_load_b128 v[16:19], v[14:15], off offset:24
	global_load_b128 v[12:15], v43, s[6:7] offset:24
	global_load_b128 v[20:23], v[0:1], off offset:24
	v_mul_lo_u16 v0, 0x6d, v25
	v_mul_u32_u24_e32 v2, 0x2d83, v30
	v_mul_u32_u24_e32 v3, 0x2d83, v29
	v_and_b32_e32 v4, 0xffff, v32
	s_delay_alu instid0(VALU_DEP_4) | instskip(NEXT) | instid1(VALU_DEP_4)
	v_lshrrev_b16 v0, 8, v0
	v_lshrrev_b32_e32 v29, 19, v2
	s_delay_alu instid0(VALU_DEP_4) | instskip(NEXT) | instid1(VALU_DEP_4)
	v_lshrrev_b32_e32 v30, 19, v3
	v_mul_u32_u24_e32 v2, 45, v4
	s_delay_alu instid0(VALU_DEP_4) | instskip(NEXT) | instid1(VALU_DEP_4)
	v_sub_nc_u16 v1, v38, v0
	v_mul_lo_u16 v3, v29, 45
	s_delay_alu instid0(VALU_DEP_4) | instskip(NEXT) | instid1(VALU_DEP_4)
	v_mul_lo_u16 v4, v30, 45
	v_add_lshl_u32 v95, v2, v33, 2
	s_delay_alu instid0(VALU_DEP_4) | instskip(NEXT) | instid1(VALU_DEP_4)
	v_lshrrev_b16 v1, 1, v1
	v_sub_nc_u16 v32, v39, v3
	s_delay_alu instid0(VALU_DEP_4) | instskip(SKIP_1) | instid1(VALU_DEP_4)
	v_sub_nc_u16 v33, v40, v4
	v_lshlrev_b32_e32 v39, 3, v39
	v_and_b32_e32 v1, 0x7f, v1
	s_delay_alu instid0(VALU_DEP_4) | instskip(NEXT) | instid1(VALU_DEP_4)
	v_lshlrev_b16 v2, 4, v32
	v_lshlrev_b16 v3, 4, v33
	s_delay_alu instid0(VALU_DEP_3) | instskip(SKIP_1) | instid1(VALU_DEP_4)
	v_add_nc_u16 v0, v1, v0
	v_mad_u16 v1, v34, 45, v36
	v_and_b32_e32 v36, 0xffff, v2
	s_delay_alu instid0(VALU_DEP_4) | instskip(NEXT) | instid1(VALU_DEP_4)
	v_and_b32_e32 v44, 0xffff, v3
	v_lshrrev_b16 v31, 5, v0
	v_mad_u16 v0, v35, 45, v42
	v_and_b32_e32 v9, 0xffff, v1
	v_add_co_u32 v42, s2, s6, v36
	s_delay_alu instid0(VALU_DEP_4) | instskip(NEXT) | instid1(VALU_DEP_4)
	v_mul_lo_u16 v4, v31, 45
	v_and_b32_e32 v8, 0xffff, v0
	s_delay_alu instid0(VALU_DEP_4)
	v_lshlrev_b32_e32 v96, 2, v9
	s_wait_alu 0xf1ff
	v_add_co_ci_u32_e64 v43, null, s7, 0, s2
	v_sub_nc_u16 v10, v38, v4
	ds_load_b32 v98, v55 offset:7560
	ds_load_2addr_b32 v[0:1], v77 offset0:56 offset1:191
	ds_load_2addr_b32 v[2:3], v91 offset0:70 offset1:205
	;; [unrolled: 1-line block ×4, first 2 shown]
	v_lshlrev_b32_e32 v97, 2, v8
	v_and_b32_e32 v25, 0xff, v10
	ds_load_2addr_b32 v[8:9], v90 offset0:42 offset1:177
	ds_load_2addr_b32 v[10:11], v80 offset0:84 offset1:219
	ds_load_2addr_b32 v[34:35], v55 offset1:135
	global_wb scope:SCOPE_SE
	s_wait_loadcnt_dscnt 0x0
	s_barrier_signal -1
	s_barrier_wait -1
	global_inv scope:SCOPE_SE
	v_lshlrev_b32_e32 v36, 4, v25
	v_lshrrev_b32_e32 v99, 16, v98
	v_lshrrev_b32_e32 v100, 16, v0
	;; [unrolled: 1-line block ×27, first 2 shown]
	v_mul_f16_e64 v131, v99, v103
	v_mul_f16_e64 v132, v98, v103
	;; [unrolled: 1-line block ×24, first 2 shown]
	v_fma_f16 v98, v98, v19, -v131
	v_fmac_f16_e64 v132, v99, v19
	v_fmac_f16_e64 v133, v100, v17
	;; [unrolled: 1-line block ×4, first 2 shown]
	v_fma_f16 v0, v0, v17, -v134
	v_fma_f16 v3, v3, v18, -v136
	;; [unrolled: 1-line block ×10, first 2 shown]
	v_fmac_f16_e64 v140, v116, v12
	v_fmac_f16_e64 v152, v119, v13
	;; [unrolled: 1-line block ×5, first 2 shown]
	v_fma_f16 v10, v10, v15, -v161
	v_fmac_f16_e64 v163, v122, v15
	v_fmac_f16_e64 v145, v118, v20
	;; [unrolled: 1-line block ×3, first 2 shown]
	v_add_f16_e32 v99, v0, v3
	v_add_f16_e32 v100, v5, v98
	v_sub_f16_e32 v114, v0, v5
	v_sub_f16_e32 v116, v3, v98
	v_add_f16_e64 v117, v133, v135
	v_add_f16_e64 v118, v137, v132
	v_sub_f16_e64 v120, v133, v137
	v_sub_f16_e64 v121, v135, v132
	;; [unrolled: 1-line block ×4, first 2 shown]
	v_add_f16_e64 v146, v155, v158
	v_add_f16_e64 v174, v8, v1
	;; [unrolled: 1-line block ×6, first 2 shown]
	v_sub_f16_e64 v179, v140, v152
	v_sub_f16_e64 v183, v140, v163
	;; [unrolled: 1-line block ×3, first 2 shown]
	v_add_f16_e64 v140, v140, v163
	v_add_f16_e64 v136, v9, v2
	;; [unrolled: 1-line block ×6, first 2 shown]
	v_add_f16_e32 v101, v6, v5
	v_add_f16_e64 v119, v115, v137
	v_sub_f16_e64 v177, v7, v8
	v_sub_f16_e64 v185, v7, v10
	;; [unrolled: 1-line block ×3, first 2 shown]
	v_sub_f16_e32 v7, v8, v7
	v_fma_f16 v99, -0.5, v99, v6
	v_fmac_f16_e32 v6, -0.5, v100
	v_add_f16_e32 v100, v114, v116
	v_fma_f16 v114, -0.5, v117, v115
	v_fmac_f16_e32 v115, -0.5, v118
	v_add_f16_e32 v116, v120, v121
	v_add_f16_e64 v118, v141, v143
	v_fma_f16 v120, -0.5, v146, v124
	v_add_f16_e64 v8, v176, v8
	v_add_f16_e64 v141, v181, v152
	v_fma_f16 v143, -0.5, v182, v125
	v_fma_f16 v146, -0.5, v174, v34
	v_sub_f16_e64 v122, v133, v135
	v_sub_f16_e32 v123, v0, v3
	v_sub_f16_e64 v131, v137, v132
	v_sub_f16_e64 v184, v152, v142
	;; [unrolled: 1-line block ×4, first 2 shown]
	v_fmac_f16_e64 v125, -0.5, v140
	v_fma_f16 v34, -0.5, v175, v34
	v_sub_f16_e64 v171, v9, v2
	v_sub_f16_e64 v172, v145, v164
	;; [unrolled: 1-line block ×3, first 2 shown]
	v_sub_f16_e32 v4, v4, v9
	v_fma_f16 v117, -0.5, v136, v35
	v_add_f16_e64 v9, v139, v9
	v_add_f16_e64 v139, v157, v155
	v_sub_f16_e64 v170, v155, v158
	v_fmac_f16_e64 v35, -0.5, v138
	v_fmac_f16_e64 v124, -0.5, v148
	v_sub_f16_e64 v134, v5, v98
	v_sub_f16_e64 v178, v10, v1
	;; [unrolled: 1-line block ×5, first 2 shown]
	v_sub_f16_e32 v5, v5, v0
	v_add_f16_e32 v0, v101, v0
	v_add_f16_e64 v101, v119, v133
	v_add_f16_e32 v1, v8, v1
	v_add_f16_e64 v8, v141, v142
	v_fma_f16 v141, 0x3b9c, v183, v146
	v_fma_f16 v142, 0xbb9c, v185, v143
	v_sub_f16_e64 v161, v155, v145
	v_sub_f16_e64 v145, v145, v155
	v_add_f16_e64 v119, v137, v193
	v_fma_f16 v133, 0xbb9c, v122, v6
	v_fmac_f16_e32 v6, 0x3b9c, v122
	v_fma_f16 v137, 0x3b9c, v123, v115
	v_fmac_f16_e32 v115, 0xbb9c, v123
	v_fma_f16 v155, 0xbb9c, v184, v34
	v_fmac_f16_e64 v34, 0x3b9c, v184
	v_fma_f16 v157, 0x3b9c, v186, v125
	v_fmac_f16_e64 v125, 0xbb9c, v186
	v_fmac_f16_e64 v146, 0xbb9c, v183
	;; [unrolled: 1-line block ×3, first 2 shown]
	v_sub_f16_e64 v162, v158, v164
	v_sub_f16_e64 v190, v11, v2
	;; [unrolled: 1-line block ×3, first 2 shown]
	v_add_f16_e32 v2, v9, v2
	v_add_f16_e64 v9, v139, v158
	v_fma_f16 v139, 0x3b9c, v172, v117
	v_fma_f16 v158, 0xbb9c, v173, v120
	;; [unrolled: 1-line block ×3, first 2 shown]
	v_fmac_f16_e64 v35, 0x3b9c, v170
	v_fma_f16 v152, 0x3b9c, v171, v124
	v_fmac_f16_e64 v124, 0xbb9c, v171
	v_sub_f16_e64 v192, v98, v3
	v_add_f16_e64 v136, v177, v178
	v_add_f16_e64 v138, v179, v180
	v_fmac_f16_e64 v117, 0xbb9c, v172
	v_fmac_f16_e64 v120, 0x3b9c, v173
	v_add_f16_e32 v0, v0, v3
	v_add_f16_e64 v3, v101, v135
	v_fma_f16 v101, 0x3b9c, v131, v99
	v_fma_f16 v135, 0xbb9c, v134, v114
	v_fmac_f16_e64 v99, 0xbb9c, v131
	v_fmac_f16_e64 v114, 0x3b9c, v134
	v_fmac_f16_e64 v141, 0x38b4, v184
	v_fmac_f16_e64 v142, 0xb8b4, v186
	v_add_f16_e64 v7, v7, v187
	v_add_f16_e64 v140, v188, v189
	v_fmac_f16_e64 v6, 0xb8b4, v131
	v_fmac_f16_e64 v115, 0x38b4, v134
	;; [unrolled: 1-line block ×8, first 2 shown]
	v_add_f16_e64 v4, v4, v190
	v_add_f16_e64 v145, v145, v191
	v_fmac_f16_e64 v139, 0x38b4, v170
	v_fmac_f16_e64 v158, 0xb8b4, v171
	v_add_f16_e64 v121, v161, v162
	v_fmac_f16_e64 v35, 0xb8b4, v172
	v_fmac_f16_e64 v124, 0x38b4, v173
	;; [unrolled: 1-line block ×4, first 2 shown]
	v_add_f16_e64 v5, v5, v192
	v_add_f16_e32 v1, v1, v10
	v_add_f16_e64 v8, v8, v163
	v_fmac_f16_e64 v117, 0xb8b4, v170
	v_fmac_f16_e64 v120, 0x38b4, v171
	v_fmac_f16_e32 v101, 0x38b4, v122
	v_fmac_f16_e64 v135, 0xb8b4, v123
	v_fmac_f16_e64 v133, 0x38b4, v131
	;; [unrolled: 1-line block ×3, first 2 shown]
	v_fmac_f16_e32 v99, 0xb8b4, v122
	v_fmac_f16_e32 v114, 0x38b4, v123
	v_fmac_f16_e64 v141, 0x34f2, v136
	v_fmac_f16_e64 v142, 0x34f2, v138
	v_add_f16_e32 v0, v0, v98
	v_add_f16_e64 v3, v3, v132
	v_fmac_f16_e32 v6, 0x34f2, v100
	v_fmac_f16_e32 v115, 0x34f2, v116
	v_fmac_f16_e64 v155, 0x34f2, v7
	v_fmac_f16_e32 v34, 0x34f2, v7
	v_fmac_f16_e64 v157, 0x34f2, v140
	v_fmac_f16_e64 v125, 0x34f2, v140
	;; [unrolled: 1-line block ×4, first 2 shown]
	v_add_f16_e32 v2, v2, v11
	v_add_f16_e64 v9, v9, v164
	v_fmac_f16_e64 v139, 0x34f2, v4
	v_fmac_f16_e64 v158, 0x34f2, v145
	v_fmac_f16_e32 v35, 0x34f2, v118
	v_fmac_f16_e32 v124, 0x34f2, v121
	v_fmac_f16_e64 v148, 0x34f2, v118
	v_fmac_f16_e64 v152, 0x34f2, v121
	v_pack_b32_f16 v1, v1, v8
	v_fmac_f16_e32 v117, 0x34f2, v4
	v_fmac_f16_e64 v120, 0x34f2, v145
	v_fmac_f16_e32 v101, 0x34f2, v5
	v_fmac_f16_e64 v135, 0x34f2, v119
	v_fmac_f16_e64 v133, 0x34f2, v100
	;; [unrolled: 1-line block ×3, first 2 shown]
	v_fmac_f16_e32 v99, 0x34f2, v5
	v_fmac_f16_e32 v114, 0x34f2, v119
	v_pack_b32_f16 v5, v141, v142
	v_pack_b32_f16 v0, v0, v3
	;; [unrolled: 1-line block ×14, first 2 shown]
	ds_store_2addr_b32 v95, v1, v5 offset1:9
	ds_store_2addr_b32 v95, v6, v7 offset0:18 offset1:27
	ds_store_b32 v95, v8 offset:144
	ds_store_2addr_b32 v97, v2, v9 offset1:9
	ds_store_2addr_b32 v97, v10, v4 offset0:18 offset1:27
	ds_store_b32 v97, v11 offset:144
	;; [unrolled: 3-line block ×3, first 2 shown]
	v_add_co_u32 v8, s2, s6, v44
	s_wait_alu 0xf1ff
	v_add_co_ci_u32_e64 v9, null, s7, 0, s2
	global_wb scope:SCOPE_SE
	s_wait_dscnt 0x0
	s_barrier_signal -1
	s_barrier_wait -1
	global_inv scope:SCOPE_SE
	s_clause 0x2
	global_load_b128 v[4:7], v[42:43], off offset:168
	global_load_b128 v[0:3], v36, s[6:7] offset:168
	global_load_b128 v[8:11], v[8:9], off offset:168
	v_add_co_u32 v34, s2, 0xffffffa6, v66
	s_wait_alu 0xf1ff
	v_add_co_ci_u32_e64 v36, null, 0, -1, s2
	v_lshrrev_b32_e32 v43, 23, v27
	s_wait_alu 0xfffd
	v_cndmask_b32_e32 v35, v34, v40, vcc_lo
	v_mul_u32_u24_e32 v28, 0x91a3, v28
	v_cndmask_b32_e32 v36, v36, v26, vcc_lo
	v_lshlrev_b32_e32 v42, 3, v66
	v_mul_lo_u16 v34, 0xe1, v43
	s_delay_alu instid0(VALU_DEP_4) | instskip(NEXT) | instid1(VALU_DEP_4)
	v_lshrrev_b32_e32 v28, 23, v28
	v_lshlrev_b64_e32 v[26:27], 3, v[35:36]
	s_delay_alu instid0(VALU_DEP_3) | instskip(SKIP_1) | instid1(VALU_DEP_4)
	v_sub_nc_u16 v44, v37, v34
	v_lshlrev_b32_e32 v37, 3, v37
	v_mul_lo_u16 v28, 0xe1, v28
	s_delay_alu instid0(VALU_DEP_4) | instskip(SKIP_2) | instid1(VALU_DEP_3)
	v_add_co_u32 v131, vcc_lo, s6, v26
	s_wait_alu 0xfffd
	v_add_co_ci_u32_e32 v132, vcc_lo, s7, v27, vcc_lo
	v_sub_nc_u16 v36, v41, v28
	v_mad_u16 v26, 0xe1, v30, v33
	v_mad_u16 v27, 0xe1, v29, v32
	v_lshlrev_b16 v29, 3, v44
	v_and_b32_e32 v30, 0xffff, v31
	v_lshlrev_b16 v28, 3, v36
	v_and_b32_e32 v26, 0xffff, v26
	v_and_b32_e32 v27, 0xffff, v27
	;; [unrolled: 1-line block ×3, first 2 shown]
	v_mul_u32_u24_e32 v101, 0xe1, v30
	v_and_b32_e32 v34, 0xffff, v28
	v_lshlrev_b32_e32 v99, 2, v26
	v_lshlrev_b32_e32 v98, 2, v27
	ds_load_b32 v143, v55 offset:7560
	ds_load_2addr_b32 v[26:27], v77 offset0:56 offset1:191
	ds_load_2addr_b32 v[28:29], v91 offset0:70 offset1:205
	;; [unrolled: 1-line block ×6, first 2 shown]
	ds_load_2addr_b32 v[139:140], v55 offset1:135
	v_add_co_u32 v133, s2, s6, v34
	s_wait_alu 0xf1ff
	v_add_co_ci_u32_e64 v134, null, s7, 0, s2
	v_add_co_u32 v141, s2, s6, v100
	v_add_lshl_u32 v100, v101, v25, 2
	s_wait_alu 0xf1ff
	v_add_co_ci_u32_e64 v142, null, s7, 0, s2
	global_wb scope:SCOPE_SE
	s_wait_loadcnt_dscnt 0x0
	s_barrier_signal -1
	s_barrier_wait -1
	global_inv scope:SCOPE_SE
	v_cmp_lt_u16_e32 vcc_lo, 0x59, v38
	v_lshrrev_b32_e32 v25, 16, v143
	v_lshrrev_b32_e32 v34, 16, v26
	;; [unrolled: 1-line block ×15, first 2 shown]
	s_wait_alu 0xfffd
	v_cndmask_b32_e64 v38, 0, 0x2a3, vcc_lo
	v_and_b32_e32 v36, 0xffff, v36
	s_add_nc_u64 s[2:3], s[4:5], 0x1fa4
	v_lshrrev_b32_e32 v115, 16, v7
	v_lshrrev_b32_e32 v117, 16, v5
	;; [unrolled: 1-line block ×12, first 2 shown]
	v_mul_f16_e64 v171, v25, v115
	v_mul_f16_e64 v172, v143, v115
	;; [unrolled: 1-line block ×24, first 2 shown]
	v_fma_f16 v26, v26, v5, -v174
	v_fma_f16 v31, v31, v4, -v178
	;; [unrolled: 1-line block ×3, first 2 shown]
	v_fmac_f16_e64 v172, v25, v7
	v_fmac_f16_e64 v173, v34, v5
	;; [unrolled: 1-line block ×4, first 2 shown]
	v_fma_f16 v25, v29, v6, -v176
	v_fmac_f16_e64 v180, v148, v0
	v_fmac_f16_e64 v187, v157, v1
	;; [unrolled: 1-line block ×4, first 2 shown]
	v_fma_f16 v27, v27, v2, -v181
	v_fma_f16 v30, v30, v8, -v183
	;; [unrolled: 1-line block ×8, first 2 shown]
	v_fmac_f16_e64 v184, v155, v8
	v_fmac_f16_e64 v188, v158, v9
	v_fmac_f16_e64 v190, v161, v10
	v_fmac_f16_e64 v194, v163, v11
	v_sub_f16_e64 v145, v26, v31
	v_sub_f16_e64 v148, v25, v143
	v_add_f16_e64 v152, v173, v175
	v_add_f16_e64 v155, v177, v172
	v_sub_f16_e64 v191, v180, v187
	v_sub_f16_e64 v192, v193, v182
	v_add_f16_e64 v138, v32, v31
	v_add_f16_e64 v157, v146, v177
	v_sub_f16_e64 v158, v173, v177
	v_sub_f16_e64 v161, v175, v172
	v_add_f16_e64 v171, v140, v30
	v_sub_f16_e64 v174, v34, v30
	v_sub_f16_e64 v176, v28, v135
	;; [unrolled: 1-line block ×4, first 2 shown]
	v_add_f16_e64 v185, v164, v184
	v_sub_f16_e64 v195, v33, v29
	v_sub_f16_e64 v196, v27, v101
	v_add_f16_e64 v197, v187, v182
	v_add_f16_e64 v199, v170, v180
	;; [unrolled: 1-line block ×4, first 2 shown]
	v_fma_f16 v152, -0.5, v152, v146
	v_fmac_f16_e64 v146, -0.5, v155
	v_add_f16_e64 v155, v33, v27
	v_add_f16_e64 v191, v191, v192
	;; [unrolled: 1-line block ×7, first 2 shown]
	v_sub_f16_e64 v186, v29, v33
	v_sub_f16_e64 v189, v101, v27
	v_add_f16_e64 v198, v180, v193
	v_add_f16_e64 v178, v188, v190
	;; [unrolled: 1-line block ×3, first 2 shown]
	v_sub_f16_e64 v200, v187, v180
	v_sub_f16_e64 v202, v30, v34
	;; [unrolled: 1-line block ×3, first 2 shown]
	v_add_f16_e64 v158, v158, v161
	v_sub_f16_e64 v161, v33, v27
	v_add_f16_e64 v174, v174, v176
	v_sub_f16_e64 v176, v34, v28
	;; [unrolled: 2-line block ×3, first 2 shown]
	v_sub_f16_e32 v29, v29, v101
	v_sub_f16_e64 v180, v180, v193
	v_add_f16_e64 v195, v195, v196
	v_fma_f16 v196, -0.5, v197, v170
	v_add_f16_e64 v33, v148, v33
	v_add_f16_e64 v148, v199, v187
	;; [unrolled: 1-line block ×6, first 2 shown]
	v_fma_f16 v157, -0.5, v192, v139
	v_fma_f16 v139, -0.5, v155, v139
	;; [unrolled: 1-line block ×3, first 2 shown]
	v_fmac_f16_e64 v32, -0.5, v137
	v_fma_f16 v162, -0.5, v162, v140
	v_fmac_f16_e64 v140, -0.5, v163
	v_sub_f16_e64 v163, v187, v182
	v_add_f16_e64 v186, v186, v189
	v_sub_f16_e64 v189, v173, v175
	v_fmac_f16_e64 v170, -0.5, v198
	v_sub_f16_e64 v204, v184, v188
	v_fma_f16 v178, -0.5, v178, v164
	v_sub_f16_e64 v30, v30, v135
	v_sub_f16_e64 v184, v184, v194
	v_fmac_f16_e64 v164, -0.5, v179
	v_sub_f16_e64 v179, v188, v190
	v_sub_f16_e64 v203, v135, v28
	;; [unrolled: 1-line block ×5, first 2 shown]
	v_add_f16_e32 v27, v33, v27
	v_add_f16_e64 v33, v148, v182
	v_add_f16_e32 v28, v34, v28
	v_add_f16_e64 v34, v171, v190
	v_fma_f16 v148, 0x3b9c, v180, v139
	v_fma_f16 v171, 0xbb9c, v29, v196
	v_sub_f16_e64 v201, v182, v193
	v_sub_f16_e64 v205, v194, v190
	;; [unrolled: 1-line block ×3, first 2 shown]
	v_add_f16_e32 v25, v26, v25
	v_add_f16_e64 v26, v138, v175
	v_fma_f16 v138, 0xbb9c, v163, v157
	v_fmac_f16_e64 v157, 0x3b9c, v163
	v_fma_f16 v155, 0x3b9c, v161, v170
	v_fmac_f16_e64 v170, 0xbb9c, v161
	;; [unrolled: 2-line block ×4, first 2 shown]
	v_fmac_f16_e64 v139, 0xbb9c, v180
	v_fmac_f16_e64 v196, 0x3b9c, v29
	v_sub_f16_e64 v137, v172, v175
	v_fma_f16 v175, 0x3b9c, v184, v162
	v_fma_f16 v185, 0xbb9c, v30, v178
	;; [unrolled: 1-line block ×3, first 2 shown]
	v_fmac_f16_e64 v140, 0x3b9c, v179
	v_fma_f16 v182, 0x3b9c, v176, v164
	v_fmac_f16_e64 v164, 0xbb9c, v176
	v_fmac_f16_e64 v162, 0xbb9c, v184
	;; [unrolled: 1-line block ×3, first 2 shown]
	v_fma_f16 v188, 0x3b9c, v177, v136
	v_fmac_f16_e64 v136, 0xbb9c, v177
	v_fma_f16 v192, 0xbb9c, v31, v152
	v_fmac_f16_e64 v152, 0x3b9c, v31
	v_fmac_f16_e64 v148, 0x38b4, v163
	;; [unrolled: 1-line block ×3, first 2 shown]
	v_add_f16_e64 v197, v200, v201
	v_fmac_f16_e64 v138, 0x38b4, v180
	v_fmac_f16_e64 v157, 0xb8b4, v180
	;; [unrolled: 1-line block ×8, first 2 shown]
	v_add_f16_e64 v198, v202, v203
	v_add_f16_e64 v200, v204, v205
	v_fmac_f16_e64 v175, 0x38b4, v179
	v_fmac_f16_e64 v185, 0xb8b4, v176
	;; [unrolled: 1-line block ×6, first 2 shown]
	v_add_f16_e64 v201, v206, v207
	v_add_f16_e64 v137, v208, v137
	v_add_f16_e32 v27, v27, v101
	v_add_f16_e64 v33, v33, v193
	v_fmac_f16_e64 v162, 0xb8b4, v179
	v_fmac_f16_e64 v178, 0x38b4, v176
	;; [unrolled: 1-line block ×10, first 2 shown]
	v_add_f16_e64 v25, v25, v143
	v_add_f16_e64 v26, v26, v172
	v_fmac_f16_e64 v138, 0x34f2, v195
	v_fmac_f16_e64 v157, 0x34f2, v195
	;; [unrolled: 1-line block ×8, first 2 shown]
	v_add_f16_e64 v28, v28, v135
	v_add_f16_e64 v29, v34, v194
	v_fmac_f16_e64 v175, 0x34f2, v198
	v_fmac_f16_e64 v185, 0x34f2, v200
	;; [unrolled: 1-line block ×6, first 2 shown]
	v_pack_b32_f16 v27, v27, v33
	v_fmac_f16_e64 v162, 0x34f2, v198
	v_fmac_f16_e64 v178, 0x34f2, v200
	;; [unrolled: 1-line block ×8, first 2 shown]
	v_pack_b32_f16 v30, v148, v171
	v_pack_b32_f16 v25, v25, v26
	;; [unrolled: 1-line block ×14, first 2 shown]
	ds_store_2addr_b32 v100, v27, v30 offset1:45
	ds_store_2addr_b32 v100, v31, v32 offset0:90 offset1:135
	ds_store_b32 v100, v33 offset:720
	ds_store_2addr_b32 v99, v28, v34 offset1:45
	ds_store_2addr_b32 v99, v101, v29 offset0:90 offset1:135
	ds_store_b32 v99, v135 offset:720
	;; [unrolled: 3-line block ×3, first 2 shown]
	global_wb scope:SCOPE_SE
	s_wait_dscnt 0x0
	s_barrier_signal -1
	s_barrier_wait -1
	global_inv scope:SCOPE_SE
	s_clause 0x4
	global_load_b64 v[25:26], v[133:134], off offset:888
	global_load_b64 v[27:28], v42, s[6:7] offset:888
	global_load_b64 v[31:32], v[131:132], off offset:888
	global_load_b64 v[29:30], v[141:142], off offset:888
	global_load_b64 v[33:34], v42, s[6:7] offset:1248
	v_lshlrev_b32_e32 v143, 3, v41
	v_lshlrev_b32_e32 v146, 3, v40
	ds_load_b32 v170, v55 offset:7560
	ds_load_2addr_b32 v[40:41], v77 offset0:56 offset1:191
	ds_load_2addr_b32 v[135:136], v91 offset0:70 offset1:205
	;; [unrolled: 1-line block ×4, first 2 shown]
	v_mad_u16 v131, 0x2a3, v43, v44
	ds_load_2addr_b32 v[43:44], v90 offset0:42 offset1:177
	ds_load_2addr_b32 v[141:142], v55 offset1:135
	v_add_lshl_u32 v134, v35, v38, 2
	v_add_nc_u32_e32 v101, 0xb00, v55
	v_and_b32_e32 v132, 0xffff, v131
	v_lshlrev_b32_e32 v131, 2, v36
	ds_load_2addr_b32 v[35:36], v83 offset0:14 offset1:149
	global_wb scope:SCOPE_SE
	s_wait_loadcnt_dscnt 0x0
	s_barrier_signal -1
	v_lshlrev_b32_e32 v132, 2, v132
	v_add_nc_u32_e32 v133, 0x1500, v131
	s_barrier_wait -1
	global_inv scope:SCOPE_SE
	v_lshrrev_b32_e32 v38, 16, v170
	v_lshrrev_b32_e32 v171, 16, v41
	;; [unrolled: 1-line block ×25, first 2 shown]
	v_mul_f16_e64 v185, v38, v145
	v_mul_f16_e64 v186, v170, v145
	;; [unrolled: 1-line block ×20, first 2 shown]
	v_fma_f16 v135, v135, v28, -v189
	v_fma_f16 v41, v41, v25, -v188
	v_fma_f16 v170, v170, v26, -v185
	v_fmac_f16_e64 v186, v38, v26
	v_fma_f16 v38, v137, v34, -v199
	v_fma_f16 v137, v138, v30, -v200
	v_fmac_f16_e64 v187, v171, v25
	v_fmac_f16_e64 v191, v172, v28
	;; [unrolled: 1-line block ×5, first 2 shown]
	v_fma_f16 v138, v140, v27, -v204
	v_fma_f16 v136, v136, v32, -v190
	;; [unrolled: 1-line block ×5, first 2 shown]
	v_fmac_f16_e64 v197, v175, v33
	v_fmac_f16_e64 v201, v177, v34
	v_fmac_f16_e64 v198, v176, v29
	v_fmac_f16_e64 v202, v178, v30
	v_add_f16_e64 v140, v41, v170
	v_add_f16_e64 v172, v187, v186
	;; [unrolled: 1-line block ×3, first 2 shown]
	v_sub_f16_e64 v174, v187, v186
	v_add_f16_e64 v177, v195, v192
	v_add_f16_e64 v185, v138, v135
	;; [unrolled: 1-line block ×8, first 2 shown]
	v_sub_f16_e64 v180, v195, v192
	v_sub_f16_e64 v190, v203, v191
	v_add_f16_e64 v193, v40, v137
	v_add_f16_e64 v195, v198, v202
	;; [unrolled: 1-line block ×7, first 2 shown]
	v_sub_f16_e64 v43, v43, v136
	v_sub_f16_e64 v138, v138, v135
	v_fmac_f16_e64 v139, -0.5, v140
	v_fmac_f16_e64 v181, -0.5, v177
	v_fma_f16 v140, -0.5, v185, v141
	v_add_f16_e64 v141, v188, v191
	v_add_f16_e64 v135, v187, v135
	v_fmac_f16_e64 v182, -0.5, v189
	v_sub_f16_e64 v41, v41, v170
	v_fmac_f16_e64 v179, -0.5, v172
	v_fmac_f16_e64 v142, -0.5, v175
	v_add_f16_e64 v194, v36, v40
	v_add_f16_e64 v196, v183, v198
	v_sub_f16_e64 v197, v197, v201
	v_sub_f16_e32 v44, v44, v38
	v_sub_f16_e64 v40, v40, v137
	v_sub_f16_e64 v198, v198, v202
	v_add_f16_e64 v136, v176, v136
	v_add_f16_e64 v172, v178, v192
	v_fmac_f16_e64 v36, -0.5, v193
	v_fmac_f16_e64 v183, -0.5, v195
	v_add_f16_e64 v175, v199, v201
	v_add_f16_e64 v38, v203, v38
	v_fmac_f16_e64 v184, -0.5, v200
	v_fma_f16 v35, -0.5, v204, v35
	v_fma_f16 v177, 0xbaee, v43, v181
	v_fmac_f16_e64 v181, 0x3aee, v43
	v_pack_b32_f16 v43, v135, v141
	v_fma_f16 v135, 0x3aee, v190, v140
	v_fma_f16 v141, 0xbaee, v138, v182
	v_fmac_f16_e64 v140, 0xbaee, v190
	v_fmac_f16_e64 v182, 0x3aee, v138
	v_add_f16_e64 v170, v171, v170
	v_add_f16_e64 v171, v173, v186
	v_fma_f16 v173, 0x3aee, v174, v139
	v_fmac_f16_e64 v139, 0xbaee, v174
	v_fma_f16 v174, 0xbaee, v41, v179
	v_fmac_f16_e64 v179, 0x3aee, v41
	;; [unrolled: 2-line block ×3, first 2 shown]
	v_add_f16_e64 v137, v194, v137
	v_add_f16_e64 v176, v196, v202
	v_pack_b32_f16 v136, v136, v172
	v_fma_f16 v138, 0x3aee, v198, v36
	v_fmac_f16_e64 v36, 0xbaee, v198
	v_fma_f16 v172, 0xbaee, v40, v183
	v_fmac_f16_e64 v183, 0x3aee, v40
	v_pack_b32_f16 v38, v38, v175
	v_fma_f16 v40, 0x3aee, v197, v35
	v_fmac_f16_e64 v35, 0xbaee, v197
	v_fma_f16 v175, 0xbaee, v44, v184
	v_fmac_f16_e64 v184, 0x3aee, v44
	v_pack_b32_f16 v135, v135, v141
	v_pack_b32_f16 v140, v140, v182
	;; [unrolled: 1-line block ×12, first 2 shown]
	ds_store_2addr_b32 v55, v43, v135 offset1:225
	ds_store_b32 v55, v140 offset:1800
	ds_store_2addr_b32 v134, v136, v41 offset1:225
	ds_store_b32 v134, v142 offset:1800
	ds_store_2addr_b32 v101, v38, v40 offset0:16 offset1:241
	ds_store_b32 v55, v35 offset:4680
	ds_store_2addr_b32 v132, v44, v138 offset1:225
	ds_store_b32 v132, v36 offset:1800
	ds_store_2addr_b32 v133, v137, v141 offset0:6 offset1:231
	ds_store_b32 v131, v139 offset:7200
	global_wb scope:SCOPE_SE
	s_wait_dscnt 0x0
	s_barrier_signal -1
	s_barrier_wait -1
	global_inv scope:SCOPE_SE
	s_clause 0x4
	global_load_b64 v[35:36], v143, s[6:7] offset:2688
	global_load_b64 v[43:44], v42, s[6:7] offset:2688
	;; [unrolled: 1-line block ×5, first 2 shown]
	ds_load_b32 v184, v55 offset:7560
	ds_load_2addr_b32 v[170:171], v77 offset0:56 offset1:191
	ds_load_2addr_b32 v[172:173], v92 offset0:28 offset1:163
	;; [unrolled: 1-line block ×4, first 2 shown]
	ds_load_2addr_b32 v[178:179], v55 offset1:135
	ds_load_2addr_b32 v[180:181], v80 offset0:84 offset1:219
	ds_load_2addr_b32 v[182:183], v83 offset0:14 offset1:149
	s_wait_dscnt 0x7
	v_lshrrev_b32_e32 v185, 16, v184
	s_wait_dscnt 0x6
	v_lshrrev_b32_e32 v186, 16, v171
	;; [unrolled: 2-line block ×4, first 2 shown]
	v_lshrrev_b32_e32 v190, 16, v175
	s_wait_dscnt 0x3
	v_lshrrev_b32_e32 v191, 16, v176
	s_wait_dscnt 0x1
	v_lshrrev_b32_e32 v197, 16, v181
	v_lshrrev_b32_e32 v195, 16, v170
	;; [unrolled: 1-line block ×7, first 2 shown]
	s_wait_dscnt 0x0
	v_lshrrev_b32_e32 v198, 16, v183
	v_lshrrev_b32_e32 v199, 16, v182
	s_wait_loadcnt 0x3
	v_lshrrev_b32_e32 v142, 16, v44
	s_wait_loadcnt 0x2
	v_lshrrev_b32_e32 v139, 16, v42
	v_lshrrev_b32_e32 v135, 16, v36
	;; [unrolled: 1-line block ×5, first 2 shown]
	v_mul_f16_e64 v204, v189, v142
	s_wait_loadcnt 0x0
	v_lshrrev_b32_e32 v138, 16, v38
	v_mul_f16_e64 v201, v184, v135
	v_mul_f16_e64 v202, v171, v136
	;; [unrolled: 1-line block ×3, first 2 shown]
	v_lshrrev_b32_e32 v137, 16, v37
	v_lshrrev_b32_e32 v141, 16, v40
	v_mul_f16_e64 v200, v185, v135
	v_mul_f16_e64 v203, v186, v136
	;; [unrolled: 1-line block ×5, first 2 shown]
	v_fma_f16 v174, v174, v44, -v204
	v_mul_f16_e64 v204, v191, v143
	v_lshrrev_b32_e32 v140, 16, v39
	v_mul_f16_e64 v209, v188, v146
	v_mul_f16_e64 v210, v176, v143
	v_fmac_f16_e64 v201, v185, v36
	v_fmac_f16_e64 v202, v186, v35
	;; [unrolled: 1-line block ×3, first 2 shown]
	v_mul_f16_e64 v190, v197, v138
	v_fma_f16 v175, v175, v42, -v205
	v_fma_f16 v184, v184, v36, -v200
	v_mul_f16_e64 v185, v195, v137
	v_fmac_f16_e64 v208, v188, v43
	v_mul_f16_e64 v188, v180, v141
	v_fma_f16 v171, v171, v35, -v203
	v_fma_f16 v176, v176, v41, -v204
	v_mul_f16_e64 v205, v194, v140
	v_mul_f16_e64 v200, v177, v140
	;; [unrolled: 1-line block ×3, first 2 shown]
	v_fmac_f16_e64 v206, v189, v44
	v_mul_f16_e64 v189, v196, v141
	v_fmac_f16_e64 v210, v191, v41
	v_mul_f16_e64 v191, v181, v138
	v_fma_f16 v173, v173, v43, -v209
	v_fma_f16 v181, v181, v38, -v190
	v_add_f16_e64 v190, v202, v201
	v_fma_f16 v170, v170, v37, -v185
	v_fmac_f16_e64 v188, v196, v40
	v_add_f16_e64 v185, v171, v184
	v_add_f16_e64 v196, v176, v175
	v_fma_f16 v177, v177, v39, -v205
	v_fma_f16 v180, v180, v40, -v189
	v_fmac_f16_e64 v200, v194, v39
	v_fmac_f16_e64 v186, v195, v37
	v_fmac_f16_e64 v191, v197, v38
	v_add_f16_e64 v194, v187, v202
	v_add_f16_e64 v203, v192, v210
	;; [unrolled: 1-line block ×3, first 2 shown]
	v_fmac_f16_e64 v187, -0.5, v190
	v_add_f16_e64 v190, v193, v208
	v_add_f16_e64 v189, v172, v171
	v_sub_f16_e64 v195, v202, v201
	v_add_f16_e64 v197, v179, v176
	v_add_f16_e64 v202, v210, v207
	v_add_f16_e64 v205, v173, v174
	v_fmac_f16_e64 v172, -0.5, v185
	v_add_f16_e64 v185, v208, v206
	v_fmac_f16_e64 v179, -0.5, v196
	v_add_f16_e64 v196, v170, v181
	v_sub_f16_e64 v204, v210, v207
	v_sub_f16_e64 v173, v173, v174
	;; [unrolled: 1-line block ×3, first 2 shown]
	v_add_f16_e64 v174, v209, v174
	v_add_f16_e64 v209, v186, v191
	v_add_f16_e64 v190, v190, v206
	v_add_f16_e64 v206, v177, v180
	v_add_f16_e64 v203, v203, v207
	v_add_f16_e64 v207, v200, v188
	v_sub_f16_e64 v176, v176, v175
	v_fmac_f16_e64 v192, -0.5, v202
	v_add_f16_e64 v202, v183, v170
	v_fmac_f16_e64 v193, -0.5, v185
	v_add_f16_e64 v185, v198, v186
	;; [unrolled: 2-line block ×3, first 2 shown]
	v_fma_f16 v178, -0.5, v205, v178
	v_sub_f16_e64 v171, v171, v184
	v_sub_f16_e64 v186, v186, v191
	;; [unrolled: 1-line block ×3, first 2 shown]
	v_add_f16_e64 v175, v197, v175
	v_add_f16_e64 v197, v182, v177
	v_sub_f16_e64 v200, v200, v188
	v_sub_f16_e64 v177, v177, v180
	v_fmac_f16_e64 v198, -0.5, v209
	v_fma_f16 v182, -0.5, v206, v182
	v_fmac_f16_e64 v199, -0.5, v207
	v_add_f16_e64 v188, v196, v188
	v_add_f16_e64 v185, v185, v191
	v_fma_f16 v191, 0x3aee, v195, v172
	v_fmac_f16_e64 v172, 0xbaee, v195
	v_fma_f16 v195, 0xbaee, v176, v192
	v_fmac_f16_e64 v192, 0x3aee, v176
	v_fma_f16 v176, 0x3aee, v208, v178
	v_fma_f16 v196, 0xbaee, v173, v193
	v_fmac_f16_e64 v178, 0xbaee, v208
	v_fmac_f16_e64 v193, 0x3aee, v173
	v_add_f16_e64 v184, v189, v184
	v_add_f16_e64 v189, v194, v201
	v_fma_f16 v194, 0xbaee, v171, v187
	v_fmac_f16_e64 v187, 0x3aee, v171
	v_fma_f16 v171, 0x3aee, v204, v179
	v_pack_b32_f16 v173, v174, v190
	v_pack_b32_f16 v174, v175, v203
	v_fma_f16 v175, 0x3aee, v186, v183
	v_fmac_f16_e64 v183, 0xbaee, v186
	v_fma_f16 v186, 0xbaee, v170, v198
	v_fmac_f16_e64 v198, 0x3aee, v170
	v_fma_f16 v170, 0x3aee, v200, v182
	v_fma_f16 v190, 0xbaee, v177, v199
	v_fmac_f16_e64 v179, 0xbaee, v204
	v_fmac_f16_e64 v182, 0xbaee, v200
	;; [unrolled: 1-line block ×3, first 2 shown]
	v_add_f16_e64 v180, v197, v180
	v_add_f16_e64 v181, v202, v181
	v_pack_b32_f16 v176, v176, v196
	v_pack_b32_f16 v178, v178, v193
	;; [unrolled: 1-line block ×13, first 2 shown]
	ds_store_b32 v55, v176 offset:2700
	ds_store_b32 v55, v178 offset:5400
	ds_store_2addr_b32 v55, v173, v174 offset1:135
	ds_store_2addr_b32 v90, v171, v170 offset0:42 offset1:177
	ds_store_2addr_b32 v94, v179, v182 offset0:77 offset1:212
	;; [unrolled: 1-line block ×5, first 2 shown]
	ds_store_b32 v55, v181 offset:2160
	global_wb scope:SCOPE_SE
	s_wait_dscnt 0x0
	s_barrier_signal -1
	s_barrier_wait -1
	global_inv scope:SCOPE_SE
	s_clause 0xe
	global_load_b32 v172, v55, s[4:5] offset:8100
	global_load_b32 v176, v55, s[2:3] offset:540
	;; [unrolled: 1-line block ×15, first 2 shown]
	ds_load_2addr_b32 v[170:171], v55 offset1:135
	ds_load_b32 v178, v55 offset:7560
	v_add_nc_u32_e32 v192, 0xa00, v55
	v_add_nc_u32_e32 v193, 0x200, v55
	v_add_nc_u32_e32 v194, 0xe00, v55
	v_add_nc_u32_e32 v195, 0x600, v55
	s_wait_dscnt 0x1
	v_lshrrev_b32_e32 v174, 16, v170
	v_lshrrev_b32_e32 v179, 16, v171
	s_wait_dscnt 0x0
	v_lshrrev_b32_e32 v196, 16, v178
	s_wait_loadcnt 0xc
	v_lshrrev_b32_e32 v197, 16, v180
	s_wait_loadcnt 0xb
	;; [unrolled: 2-line block ×10, first 2 shown]
	v_lshrrev_b32_e32 v210, 16, v189
	v_lshrrev_b32_e32 v173, 16, v172
	s_delay_alu instid0(VALU_DEP_1) | instskip(SKIP_1) | instid1(VALU_DEP_2)
	v_mul_f16_e64 v175, v170, v173
	v_mul_f16_e64 v173, v174, v173
	v_fmac_f16_e64 v175, v174, v172
	s_delay_alu instid0(VALU_DEP_2) | instskip(SKIP_1) | instid1(VALU_DEP_2)
	v_fma_f16 v170, v170, v172, -v173
	v_lshrrev_b32_e32 v174, 16, v176
	v_pack_b32_f16 v170, v170, v175
	s_delay_alu instid0(VALU_DEP_2)
	v_mul_f16_e64 v205, v179, v174
	v_mul_f16_e64 v206, v171, v174
	ds_store_b32 v55, v170
	ds_load_2addr_b32 v[172:173], v90 offset0:42 offset1:177
	v_lshrrev_b32_e32 v170, 16, v177
	ds_load_2addr_b32 v[174:175], v92 offset0:28 offset1:163
	v_fma_f16 v205, v171, v176, -v205
	v_fmac_f16_e64 v206, v179, v176
	v_mul_f16_e64 v207, v196, v170
	v_mul_f16_e64 v208, v178, v170
	ds_load_2addr_b32 v[170:171], v83 offset0:14 offset1:149
	v_fma_f16 v176, v178, v177, -v207
	v_fmac_f16_e64 v208, v196, v177
	v_pack_b32_f16 v196, v205, v206
	s_delay_alu instid0(VALU_DEP_2)
	v_pack_b32_f16 v207, v176, v208
	ds_load_2addr_b32 v[176:177], v77 offset0:56 offset1:191
	s_wait_dscnt 0x3
	v_lshrrev_b32_e32 v178, 16, v172
	v_lshrrev_b32_e32 v206, 16, v173
	v_mul_f16_e64 v205, v172, v197
	s_delay_alu instid0(VALU_DEP_3) | instskip(NEXT) | instid1(VALU_DEP_3)
	v_mul_f16_e64 v197, v178, v197
	v_mul_f16_e64 v208, v206, v198
	;; [unrolled: 1-line block ×3, first 2 shown]
	s_delay_alu instid0(VALU_DEP_4)
	v_fmac_f16_e64 v205, v178, v180
	ds_load_2addr_b32 v[178:179], v91 offset0:70 offset1:205
	v_fma_f16 v172, v172, v180, -v197
	s_wait_dscnt 0x3
	v_lshrrev_b32_e32 v180, 16, v175
	v_fma_f16 v173, v173, v181, -v208
	v_mul_f16_e64 v197, v175, v199
	s_wait_dscnt 0x2
	v_lshrrev_b32_e32 v208, 16, v170
	v_fmac_f16_e64 v198, v206, v181
	v_lshrrev_b32_e32 v206, 16, v171
	v_mul_f16_e64 v181, v170, v200
	v_mul_f16_e64 v199, v180, v199
	v_fmac_f16_e64 v197, v180, v182
	v_mul_f16_e64 v180, v208, v200
	v_mul_f16_e64 v200, v171, v202
	;; [unrolled: 1-line block ×3, first 2 shown]
	v_fmac_f16_e64 v181, v208, v183
	v_lshrrev_b32_e32 v208, 16, v174
	v_fma_f16 v180, v170, v183, -v180
	v_fmac_f16_e64 v200, v206, v185
	v_fma_f16 v202, v171, v185, -v202
	ds_load_2addr_b32 v[170:171], v80 offset0:84 offset1:219
	v_mul_f16_e64 v185, v208, v203
	v_mul_f16_e64 v203, v174, v203
	v_fma_f16 v175, v175, v182, -v199
	s_wait_dscnt 0x2
	v_lshrrev_b32_e32 v182, 16, v176
	v_lshrrev_b32_e32 v199, 16, v177
	s_wait_loadcnt 0x1
	v_lshrrev_b32_e32 v183, 16, v190
	v_fma_f16 v174, v174, v186, -v185
	v_mul_f16_e64 v185, v176, v201
	v_fmac_f16_e64 v203, v208, v186
	v_mul_f16_e64 v186, v177, v204
	v_mul_f16_e64 v201, v182, v201
	;; [unrolled: 1-line block ×3, first 2 shown]
	s_wait_loadcnt 0x0
	v_lshrrev_b32_e32 v206, 16, v191
	s_wait_dscnt 0x1
	v_lshrrev_b32_e32 v208, 16, v178
	v_fmac_f16_e64 v185, v182, v184
	v_mul_f16_e64 v182, v178, v209
	v_fma_f16 v176, v176, v184, -v201
	v_lshrrev_b32_e32 v184, 16, v179
	v_fma_f16 v177, v177, v187, -v204
	s_wait_dscnt 0x0
	v_lshrrev_b32_e32 v204, 16, v170
	v_fmac_f16_e64 v186, v199, v187
	v_mul_f16_e64 v187, v170, v183
	v_lshrrev_b32_e32 v199, 16, v171
	v_mul_f16_e64 v201, v179, v210
	v_mul_f16_e64 v209, v208, v209
	v_fmac_f16_e64 v182, v208, v188
	v_mul_f16_e64 v208, v171, v206
	v_mul_f16_e64 v210, v184, v210
	;; [unrolled: 1-line block ×3, first 2 shown]
	v_fmac_f16_e64 v187, v204, v190
	v_mul_f16_e64 v204, v199, v206
	v_fmac_f16_e64 v201, v184, v189
	v_fmac_f16_e64 v208, v199, v191
	v_fma_f16 v178, v178, v188, -v209
	v_fma_f16 v179, v179, v189, -v210
	;; [unrolled: 1-line block ×4, first 2 shown]
	v_pack_b32_f16 v175, v175, v197
	v_pack_b32_f16 v172, v172, v205
	;; [unrolled: 1-line block ×7, first 2 shown]
	v_add_nc_u32_e32 v184, 0x1200, v55
	v_pack_b32_f16 v178, v178, v182
	v_pack_b32_f16 v177, v177, v186
	;; [unrolled: 1-line block ×5, first 2 shown]
	ds_store_2addr_b32 v192, v175, v172 offset0:35 offset1:170
	ds_store_2addr_b32 v193, v196, v180 offset0:7 offset1:142
	;; [unrolled: 1-line block ×7, first 2 shown]
	global_wb scope:SCOPE_SE
	s_wait_dscnt 0x0
	s_barrier_signal -1
	s_barrier_wait -1
	global_inv scope:SCOPE_SE
	ds_load_2addr_b32 v[170:171], v91 offset0:70 offset1:205
	ds_load_2addr_b32 v[172:173], v92 offset0:28 offset1:163
	ds_load_2addr_b32 v[174:175], v55 offset1:135
	ds_load_2addr_b32 v[176:177], v90 offset0:42 offset1:177
	ds_load_2addr_b32 v[178:179], v80 offset0:84 offset1:219
	;; [unrolled: 1-line block ×4, first 2 shown]
	ds_load_b32 v184, v55 offset:7560
	global_wb scope:SCOPE_SE
	s_wait_dscnt 0x0
	s_barrier_signal -1
	s_barrier_wait -1
	global_inv scope:SCOPE_SE
	v_pk_add_f16 v185, v173, v170
	v_pk_add_f16 v186, v173, v170 neg_lo:[0,1] neg_hi:[0,1]
	v_pk_add_f16 v173, v174, v173
	v_pk_add_f16 v187, v176, v171
	;; [unrolled: 1-line block ×3, first 2 shown]
	v_pk_add_f16 v176, v176, v171 neg_lo:[0,1] neg_hi:[0,1]
	v_pk_add_f16 v189, v177, v178
	v_pk_add_f16 v190, v177, v178 neg_lo:[0,1] neg_hi:[0,1]
	v_pk_add_f16 v191, v182, v179
	v_pk_add_f16 v192, v181, v182
	;; [unrolled: 1-line block ×4, first 2 shown]
	v_pk_add_f16 v182, v182, v179 neg_lo:[0,1] neg_hi:[0,1]
	v_pk_add_f16 v183, v183, v184 neg_lo:[0,1] neg_hi:[0,1]
	v_pk_add_f16 v177, v180, v177
	v_pk_fma_f16 v174, v185, 0.5, v174 op_sel_hi:[1,0,1] neg_lo:[1,0,0] neg_hi:[1,0,0]
	v_pk_mul_f16 v185, 0x3aee, v186 op_sel_hi:[0,1]
	v_pk_add_f16 v170, v173, v170
	v_pk_fma_f16 v173, v187, 0.5, v175 op_sel_hi:[1,0,1] neg_lo:[1,0,0] neg_hi:[1,0,0]
	v_pk_mul_f16 v175, 0x3aee, v176 op_sel_hi:[0,1]
	v_pk_fma_f16 v176, v189, 0.5, v180 op_sel_hi:[1,0,1] neg_lo:[1,0,0] neg_hi:[1,0,0]
	v_pk_fma_f16 v180, v191, 0.5, v181 op_sel_hi:[1,0,1] neg_lo:[1,0,0] neg_hi:[1,0,0]
	;; [unrolled: 1-line block ×3, first 2 shown]
	v_pk_mul_f16 v181, 0x3aee, v190 op_sel_hi:[0,1]
	v_pk_mul_f16 v182, 0x3aee, v182 op_sel_hi:[0,1]
	;; [unrolled: 1-line block ×3, first 2 shown]
	v_pk_add_f16 v177, v177, v178
	v_pk_add_f16 v178, v192, v179
	;; [unrolled: 1-line block ×3, first 2 shown]
	v_pk_add_f16 v184, v174, v185 op_sel:[0,1] op_sel_hi:[1,0] neg_lo:[0,1] neg_hi:[0,1]
	v_pk_add_f16 v174, v174, v185 op_sel:[0,1] op_sel_hi:[1,0]
	v_pk_add_f16 v185, v173, v175 op_sel:[0,1] op_sel_hi:[1,0] neg_lo:[0,1] neg_hi:[0,1]
	v_pk_add_f16 v173, v173, v175 op_sel:[0,1] op_sel_hi:[1,0]
	;; [unrolled: 2-line block ×5, first 2 shown]
	v_bfi_b32 v183, 0xffff, v184, v174
	v_bfi_b32 v174, 0xffff, v174, v184
	v_pk_add_f16 v171, v188, v171
	v_bfi_b32 v184, 0xffff, v185, v173
	v_bfi_b32 v173, 0xffff, v173, v185
	v_bfi_b32 v185, 0xffff, v175, v176
	v_bfi_b32 v175, 0xffff, v176, v175
	v_bfi_b32 v176, 0xffff, v181, v180
	v_bfi_b32 v180, 0xffff, v180, v181
	v_bfi_b32 v181, 0xffff, v182, v172
	v_bfi_b32 v172, 0xffff, v172, v182
	ds_store_2addr_b32 v165, v170, v183 offset1:1
	ds_store_b32 v165, v174 offset:8
	ds_store_2addr_b32 v169, v171, v184 offset1:1
	ds_store_b32 v169, v173 offset:8
	;; [unrolled: 2-line block ×5, first 2 shown]
	global_wb scope:SCOPE_SE
	s_wait_dscnt 0x0
	s_barrier_signal -1
	s_barrier_wait -1
	global_inv scope:SCOPE_SE
	ds_load_2addr_b32 v[165:166], v77 offset0:56 offset1:191
	ds_load_b32 v179, v55 offset:7560
	ds_load_2addr_b32 v[167:168], v80 offset0:84 offset1:219
	ds_load_2addr_b32 v[169:170], v90 offset0:42 offset1:177
	ds_load_2addr_b32 v[171:172], v91 offset0:70 offset1:205
	ds_load_2addr_b32 v[173:174], v92 offset0:28 offset1:163
	ds_load_2addr_b32 v[175:176], v55 offset1:135
	ds_load_2addr_b32 v[177:178], v83 offset0:14 offset1:149
	global_wb scope:SCOPE_SE
	s_wait_dscnt 0x0
	s_barrier_signal -1
	s_barrier_wait -1
	global_inv scope:SCOPE_SE
	v_lshrrev_b32_e32 v180, 16, v166
	v_lshrrev_b32_e32 v181, 16, v179
	v_mul_f16_e64 v182, v153, v166
	v_mul_f16_e64 v183, v154, v179
	v_lshrrev_b32_e32 v184, 16, v165
	v_mul_f16_e64 v185, v159, v165
	v_lshrrev_b32_e32 v186, 16, v168
	v_lshrrev_b32_e32 v187, 16, v167
	v_mul_f16_e64 v188, v160, v168
	v_mul_f16_e64 v189, v156, v167
	v_lshrrev_b32_e32 v190, 16, v170
	v_mul_f16_e64 v191, v151, v170
	v_lshrrev_b32_e32 v192, 16, v169
	;; [unrolled: 2-line block ×6, first 2 shown]
	v_lshrrev_b32_e32 v202, 16, v175
	v_lshrrev_b32_e32 v203, 16, v178
	;; [unrolled: 1-line block ×3, first 2 shown]
	v_mul_f16_e64 v153, v153, v180
	v_mul_f16_e64 v154, v154, v181
	v_fma_f16 v180, v51, v180, -v182
	v_fma_f16 v181, v52, v181, -v183
	v_mul_f16_e64 v159, v159, v184
	v_fma_f16 v182, v53, v184, -v185
	v_mul_f16_e64 v160, v160, v186
	v_mul_f16_e64 v156, v156, v187
	v_fma_f16 v183, v54, v186, -v188
	v_mul_f16_e64 v151, v151, v190
	v_fma_f16 v184, v49, v190, -v191
	v_fma_f16 v185, v50, v187, -v189
	v_mul_f16_e64 v150, v150, v192
	v_mul_f16_e64 v149, v149, v194
	v_fma_f16 v186, v47, v192, -v193
	v_fma_f16 v187, v48, v194, -v195
	v_mul_f16_e64 v147, v147, v196
	v_mul_f16_e64 v144, v144, v198
	v_fma_f16 v188, v45, v198, -v199
	v_fma_f16 v189, v46, v196, -v197
	v_lshrrev_b32_e32 v200, 16, v173
	v_fmac_f16_e64 v154, v52, v179
	v_fmac_f16_e64 v153, v51, v166
	;; [unrolled: 1-line block ×10, first 2 shown]
	v_add_f16_e64 v45, v180, v181
	v_add_f16_e64 v47, v186, v187
	;; [unrolled: 1-line block ×10, first 2 shown]
	v_fmac_f16_e64 v200, -0.5, v45
	v_fmac_f16_e64 v201, -0.5, v47
	;; [unrolled: 1-line block ×3, first 2 shown]
	v_add_f16_e64 v45, v51, v189
	v_add_f16_e64 v47, v49, v187
	v_fmac_f16_e64 v203, -0.5, v54
	v_add_f16_e64 v49, v153, v154
	v_add_f16_e64 v50, v167, v185
	v_add_f16_e64 v51, v173, v153
	v_sub_f16_e64 v54, v153, v154
	v_add_f16_e64 v153, v165, v183
	v_add_f16_e64 v165, v150, v149
	v_add_f16_e64 v167, v175, v144
	v_sub_f16_e64 v170, v144, v147
	;; [unrolled: 4-line block ×3, first 2 shown]
	v_add_f16_e64 v151, v151, v156
	v_sub_f16_e64 v48, v180, v181
	v_sub_f16_e64 v52, v186, v187
	;; [unrolled: 1-line block ×3, first 2 shown]
	v_fmac_f16_e64 v204, -0.5, v166
	v_add_f16_e64 v166, v176, v150
	v_sub_f16_e64 v150, v150, v149
	v_fmac_f16_e64 v173, -0.5, v49
	v_fmac_f16_e64 v176, -0.5, v165
	v_fma_f16 v144, -0.5, v144, v175
	v_sub_f16_e64 v172, v159, v160
	v_add_f16_e64 v159, v178, v159
	v_sub_f16_e64 v168, v182, v183
	v_sub_f16_e64 v169, v184, v185
	v_add_f16_e64 v147, v167, v147
	v_fmac_f16_e64 v178, -0.5, v171
	v_fma_f16 v151, -0.5, v151, v177
	v_fma_f16 v49, 0x3aee, v54, v200
	v_fmac_f16_e64 v200, 0xbaee, v54
	v_fma_f16 v54, 0x3aee, v150, v201
	v_fmac_f16_e64 v201, 0xbaee, v150
	v_fma_f16 v150, 0x3aee, v170, v202
	v_add_f16_e64 v51, v51, v154
	v_fma_f16 v154, 0xbaee, v48, v173
	v_fmac_f16_e64 v173, 0x3aee, v48
	v_fma_f16 v48, 0xbaee, v52, v176
	v_fmac_f16_e64 v176, 0x3aee, v52
	;; [unrolled: 2-line block ×3, first 2 shown]
	v_fmac_f16_e64 v144, 0x3aee, v53
	v_add_f16_e64 v149, v166, v149
	v_add_f16_e64 v159, v159, v160
	v_add_f16_e64 v46, v46, v181
	v_fma_f16 v165, 0x3aee, v172, v203
	v_fmac_f16_e64 v203, 0xbaee, v172
	v_add_f16_e64 v156, v174, v156
	v_fma_f16 v166, 0x3aee, v179, v204
	v_pack_b32_f16 v45, v147, v45
	v_fma_f16 v53, 0xbaee, v168, v178
	v_fmac_f16_e64 v178, 0x3aee, v168
	v_fma_f16 v147, 0xbaee, v169, v151
	v_fmac_f16_e64 v204, 0xbaee, v179
	v_fmac_f16_e64 v151, 0x3aee, v169
	v_pack_b32_f16 v52, v52, v150
	v_pack_b32_f16 v144, v144, v202
	;; [unrolled: 1-line block ×14, first 2 shown]
	ds_store_2addr_b32 v126, v45, v52 offset1:3
	ds_store_b32 v126, v144 offset:24
	ds_store_2addr_b32 v127, v47, v48 offset1:3
	ds_store_b32 v127, v153 offset:24
	;; [unrolled: 2-line block ×5, first 2 shown]
	global_wb scope:SCOPE_SE
	s_wait_dscnt 0x0
	s_barrier_signal -1
	s_barrier_wait -1
	global_inv scope:SCOPE_SE
	ds_load_2addr_b32 v[47:48], v92 offset0:28 offset1:163
	ds_load_2addr_b32 v[49:50], v90 offset0:42 offset1:177
	;; [unrolled: 1-line block ×5, first 2 shown]
	ds_load_b32 v130, v55 offset:7560
	ds_load_2addr_b32 v[45:46], v83 offset0:14 offset1:149
	ds_load_2addr_b32 v[128:129], v55 offset1:135
	global_wb scope:SCOPE_SE
	s_wait_dscnt 0x0
	s_barrier_signal -1
	s_barrier_wait -1
	global_inv scope:SCOPE_SE
	v_lshrrev_b32_e32 v144, 16, v47
	v_mul_f16_e64 v147, v112, v47
	v_lshrrev_b32_e32 v149, 16, v50
	v_mul_f16_e64 v150, v113, v50
	;; [unrolled: 2-line block ×13, first 2 shown]
	v_fma_f16 v144, v20, v144, -v147
	v_mul_f16_e64 v113, v113, v149
	v_fma_f16 v147, v21, v149, -v150
	v_mul_f16_e64 v110, v110, v151
	;; [unrolled: 2-line block ×4, first 2 shown]
	v_mul_f16_e64 v108, v108, v165
	v_fma_f16 v151, v16, v159, -v160
	v_fma_f16 v154, v18, v165, -v166
	v_mul_f16_e64 v106, v106, v171
	v_mul_f16_e64 v104, v104, v173
	;; [unrolled: 1-line block ×3, first 2 shown]
	v_fma_f16 v159, v12, v177, -v178
	v_fma_f16 v160, v13, v171, -v172
	;; [unrolled: 1-line block ×4, first 2 shown]
	v_lshrrev_b32_e32 v179, 16, v45
	v_mul_f16_e64 v105, v105, v167
	v_fma_f16 v153, v17, v167, -v168
	v_fma_f16 v156, v19, v169, -v170
	v_mul_f16_e64 v107, v107, v175
	v_mul_f16_e64 v103, v103, v169
	v_lshrrev_b32_e32 v180, 16, v129
	v_fmac_f16_e32 v113, v21, v50
	v_fmac_f16_e32 v111, v23, v54
	;; [unrolled: 1-line block ×5, first 2 shown]
	v_add_f16_e64 v50, v181, v159
	v_sub_f16_e64 v54, v160, v159
	v_sub_f16_e64 v127, v165, v166
	v_fmac_f16_e32 v110, v22, v51
	v_fmac_f16_e32 v109, v16, v48
	;; [unrolled: 1-line block ×5, first 2 shown]
	v_add_f16_e64 v13, v151, v156
	v_add_f16_e64 v14, v179, v151
	v_sub_f16_e64 v15, v153, v151
	v_sub_f16_e64 v18, v151, v156
	;; [unrolled: 1-line block ×3, first 2 shown]
	v_add_f16_e64 v51, v160, v165
	v_sub_f16_e64 v52, v159, v166
	v_add_f16_e64 v126, v159, v166
	v_sub_f16_e64 v151, v151, v153
	v_sub_f16_e64 v159, v156, v154
	v_fmac_f16_e64 v103, v19, v130
	v_add_f16_e64 v12, v153, v154
	v_sub_f16_e64 v16, v154, v156
	v_fmac_f16_e32 v112, v20, v47
	v_add_f16_e64 v19, v147, v149
	v_add_f16_e64 v20, v144, v150
	v_sub_f16_e64 v22, v147, v144
	v_sub_f16_e64 v23, v149, v150
	v_add_f16_e64 v21, v180, v144
	v_sub_f16_e64 v47, v144, v150
	v_sub_f16_e64 v130, v144, v147
	;; [unrolled: 1-line block ×4, first 2 shown]
	v_add_f16_e64 v50, v50, v160
	v_add_f16_e64 v160, v106, v104
	v_add_f16_e32 v54, v54, v127
	v_add_f16_e64 v127, v128, v102
	v_fma_f16 v51, -0.5, v51, v181
	v_fmac_f16_e64 v181, -0.5, v126
	v_add_f16_e32 v126, v102, v107
	v_add_f16_e64 v151, v151, v159
	v_sub_f16_e64 v159, v106, v104
	v_fma_f16 v12, -0.5, v12, v179
	v_fmac_f16_e64 v179, -0.5, v13
	v_add_f16_e32 v13, v15, v16
	v_add_f16_e32 v15, v105, v108
	;; [unrolled: 1-line block ×3, first 2 shown]
	v_sub_f16_e64 v49, v166, v165
	v_fma_f16 v19, -0.5, v19, v180
	v_fmac_f16_e64 v180, -0.5, v20
	v_add_f16_e32 v20, v22, v23
	v_add_f16_e32 v22, v113, v110
	v_add_f16_e64 v172, v129, v112
	v_sub_f16_e64 v46, v147, v149
	v_add_f16_e64 v167, v45, v109
	v_add_f16_e32 v23, v112, v111
	v_sub_f16_e64 v175, v113, v110
	v_add_f16_e64 v21, v21, v147
	v_sub_f16_e64 v147, v102, v106
	v_add_f16_e64 v130, v130, v144
	v_sub_f16_e64 v144, v107, v104
	v_sub_f16_e64 v17, v153, v154
	v_add_f16_e64 v14, v14, v153
	v_sub_f16_e64 v153, v102, v107
	v_sub_f16_e32 v102, v106, v102
	v_fma_f16 v160, -0.5, v160, v128
	v_add_f16_e32 v106, v127, v106
	v_fma_f16 v126, -0.5, v126, v128
	v_fma_f16 v128, 0xbb9c, v159, v181
	v_fmac_f16_e64 v181, 0x3b9c, v159
	v_sub_f16_e64 v168, v105, v109
	v_sub_f16_e64 v169, v108, v103
	v_sub_f16_e64 v170, v105, v108
	v_fma_f16 v15, -0.5, v15, v45
	v_fmac_f16_e32 v45, -0.5, v16
	v_sub_f16_e64 v173, v113, v112
	v_add_f16_e32 v48, v48, v49
	v_sub_f16_e32 v49, v112, v111
	v_sub_f16_e32 v112, v112, v113
	v_fma_f16 v22, -0.5, v22, v129
	v_add_f16_e64 v113, v172, v113
	v_sub_f16_e64 v171, v109, v103
	v_sub_f16_e32 v109, v109, v105
	v_fmac_f16_e64 v129, -0.5, v23
	v_add_f16_e64 v144, v147, v144
	v_fma_f16 v147, 0xbb9c, v175, v180
	v_fmac_f16_e64 v180, 0x3b9c, v175
	v_add_f16_e64 v105, v167, v105
	v_sub_f16_e64 v176, v104, v107
	v_fma_f16 v127, 0x3b9c, v153, v51
	v_add_f16_e32 v104, v106, v104
	v_fma_f16 v106, 0xbb9c, v52, v160
	v_fmac_f16_e64 v51, 0xbb9c, v153
	v_fmac_f16_e64 v128, 0x38b4, v153
	;; [unrolled: 1-line block ×3, first 2 shown]
	v_fma_f16 v153, 0x3b9c, v53, v126
	v_fmac_f16_e32 v126, 0xbb9c, v53
	v_add_f16_e64 v16, v168, v169
	v_fma_f16 v168, 0xbb9c, v170, v179
	v_fmac_f16_e64 v179, 0x3b9c, v170
	v_add_f16_e64 v50, v50, v165
	v_fma_f16 v165, 0x3b9c, v17, v45
	v_fmac_f16_e32 v45, 0xbb9c, v17
	v_fmac_f16_e64 v160, 0x3b9c, v52
	v_sub_f16_e64 v174, v110, v111
	v_sub_f16_e64 v177, v111, v110
	v_add_f16_e64 v21, v21, v149
	v_fma_f16 v149, 0x3b9c, v49, v19
	v_add_f16_e32 v110, v113, v110
	v_fmamk_f16 v113, v47, 0xbb9c, v22
	v_sub_f16_e64 v178, v103, v108
	v_fmac_f16_e32 v19, 0xbb9c, v49
	v_add_f16_e64 v14, v14, v154
	v_fma_f16 v154, 0x3b9c, v171, v12
	v_fmac_f16_e64 v12, 0xbb9c, v171
	v_fma_f16 v167, 0x3b9c, v46, v129
	v_fmac_f16_e64 v129, 0xbb9c, v46
	v_fmac_f16_e64 v180, 0xb8b4, v49
	;; [unrolled: 1-line block ×3, first 2 shown]
	v_fmac_f16_e32 v22, 0x3b9c, v47
	v_add_f16_e32 v49, v105, v108
	v_fmamk_f16 v105, v18, 0xbb9c, v15
	v_fmac_f16_e32 v15, 0x3b9c, v18
	v_fmac_f16_e64 v127, 0x38b4, v159
	v_fmac_f16_e32 v106, 0xb8b4, v53
	v_add_f16_e64 v102, v102, v176
	v_fmac_f16_e64 v51, 0xb8b4, v159
	v_fmac_f16_e64 v153, 0xb8b4, v52
	v_fmac_f16_e32 v126, 0x38b4, v52
	v_fmac_f16_e64 v179, 0xb8b4, v171
	v_fmac_f16_e32 v45, 0x38b4, v18
	v_fmac_f16_e64 v160, 0x38b4, v53
	v_add_f16_e64 v112, v112, v177
	v_fmac_f16_e64 v149, 0x38b4, v175
	v_fmac_f16_e32 v113, 0xb8b4, v46
	v_add_f16_e64 v23, v173, v174
	v_add_f16_e64 v109, v109, v178
	v_fmac_f16_e64 v19, 0xb8b4, v175
	v_fmac_f16_e64 v154, 0x38b4, v170
	v_fmac_f16_e64 v12, 0xb8b4, v170
	v_fmac_f16_e64 v129, 0x38b4, v47
	v_fmac_f16_e64 v167, 0xb8b4, v47
	v_fmac_f16_e32 v22, 0x38b4, v46
	v_fmac_f16_e32 v105, 0xb8b4, v17
	;; [unrolled: 1-line block ×3, first 2 shown]
	v_add_f16_e64 v50, v50, v166
	v_add_f16_e64 v14, v14, v156
	v_fmac_f16_e64 v168, 0x38b4, v171
	v_fmac_f16_e64 v180, 0x34f2, v20
	v_add_f16_e32 v104, v104, v107
	v_fmac_f16_e32 v127, 0x34f2, v48
	v_fmac_f16_e64 v147, 0x34f2, v20
	v_add_f16_e32 v20, v49, v103
	v_fmac_f16_e64 v165, 0xb8b4, v18
	v_fmac_f16_e64 v106, 0x34f2, v144
	v_add_f16_e64 v21, v21, v150
	v_fmac_f16_e64 v128, 0x34f2, v54
	v_fmac_f16_e64 v181, 0x34f2, v54
	v_fmac_f16_e32 v51, 0x34f2, v48
	v_add_f16_e32 v48, v110, v111
	v_fmac_f16_e64 v153, 0x34f2, v102
	v_fmac_f16_e32 v126, 0x34f2, v102
	v_fmac_f16_e64 v179, 0x34f2, v13
	v_fmac_f16_e32 v45, 0x34f2, v16
	v_fmac_f16_e64 v160, 0x34f2, v144
	v_fmac_f16_e64 v149, 0x34f2, v130
	v_fmac_f16_e32 v113, 0x34f2, v112
	v_fmac_f16_e64 v19, 0x34f2, v130
	v_fmac_f16_e64 v154, 0x34f2, v151
	;; [unrolled: 1-line block ×5, first 2 shown]
	v_fmac_f16_e32 v22, 0x34f2, v112
	v_fmac_f16_e32 v105, 0x34f2, v109
	v_fmac_f16_e32 v15, 0x34f2, v109
	v_fmac_f16_e64 v168, 0x34f2, v13
	v_pack_b32_f16 v13, v104, v50
	v_pack_b32_f16 v14, v20, v14
	v_fmac_f16_e64 v165, 0x34f2, v16
	v_pack_b32_f16 v20, v106, v127
	v_pack_b32_f16 v17, v48, v21
	;; [unrolled: 1-line block ×13, first 2 shown]
	ds_store_2addr_b32 v95, v13, v20 offset1:9
	ds_store_2addr_b32 v95, v21, v23 offset0:18 offset1:27
	ds_store_b32 v95, v45 offset:144
	ds_store_2addr_b32 v97, v17, v46 offset1:9
	ds_store_2addr_b32 v97, v47, v18 offset0:18 offset1:27
	ds_store_b32 v97, v19 offset:144
	;; [unrolled: 3-line block ×3, first 2 shown]
	global_wb scope:SCOPE_SE
	s_wait_dscnt 0x0
	s_barrier_signal -1
	s_barrier_wait -1
	global_inv scope:SCOPE_SE
	ds_load_2addr_b32 v[14:15], v92 offset0:28 offset1:163
	ds_load_2addr_b32 v[16:17], v90 offset0:42 offset1:177
	;; [unrolled: 1-line block ×5, first 2 shown]
	ds_load_b32 v47, v55 offset:7560
	ds_load_2addr_b32 v[12:13], v83 offset0:14 offset1:149
	ds_load_2addr_b32 v[45:46], v55 offset1:135
	global_wb scope:SCOPE_SE
	s_wait_dscnt 0x0
	s_barrier_signal -1
	s_barrier_wait -1
	global_inv scope:SCOPE_SE
	v_lshrrev_b32_e32 v48, 16, v14
	v_mul_f16_e32 v49, v124, v14
	v_lshrrev_b32_e32 v50, 16, v17
	v_mul_f16_e32 v51, v125, v17
	;; [unrolled: 2-line block ×8, first 2 shown]
	v_lshrrev_b32_e32 v108, 16, v16
	v_lshrrev_b32_e32 v110, 16, v23
	;; [unrolled: 1-line block ×3, first 2 shown]
	v_mul_f16_e32 v109, v118, v16
	v_mul_f16_e32 v111, v116, v23
	v_lshrrev_b32_e32 v112, 16, v20
	v_mul_f16_e32 v113, v119, v20
	v_mul_f16_e32 v127, v114, v13
	;; [unrolled: 1-line block ×3, first 2 shown]
	v_fma_f16 v48, v8, v48, -v49
	v_mul_f16_e32 v49, v125, v50
	v_fma_f16 v50, v9, v50, -v51
	v_mul_f16_e32 v51, v122, v52
	;; [unrolled: 2-line block ×4, first 2 shown]
	v_mul_f16_e32 v120, v120, v102
	v_fma_f16 v96, v4, v96, -v97
	v_mul_f16_e32 v97, v117, v104
	v_fma_f16 v104, v5, v104, -v105
	v_fma_f16 v102, v6, v102, -v103
	v_mul_f16_e32 v103, v115, v106
	v_fma_f16 v105, v7, v106, -v107
	v_mul_f16_e32 v106, v118, v108
	v_mul_f16_e32 v107, v116, v110
	;; [unrolled: 1-line block ×3, first 2 shown]
	v_lshrrev_b32_e32 v130, 16, v45
	v_mul_f16_e32 v115, v119, v112
	v_fma_f16 v116, v0, v126, -v127
	v_fma_f16 v108, v1, v108, -v109
	;; [unrolled: 1-line block ×4, first 2 shown]
	v_lshrrev_b32_e32 v129, 16, v46
	v_lshrrev_b32_e32 v128, 16, v12
	v_fmac_f16_e32 v106, v1, v16
	v_fmac_f16_e32 v107, v2, v23
	;; [unrolled: 1-line block ×10, first 2 shown]
	v_add_f16_e32 v0, v104, v102
	v_add_f16_e32 v1, v96, v105
	v_sub_f16_e32 v3, v104, v96
	v_sub_f16_e32 v4, v102, v105
	;; [unrolled: 1-line block ×4, first 2 shown]
	v_add_f16_e64 v17, v130, v116
	v_add_f16_e32 v18, v108, v109
	v_add_f16_e32 v22, v116, v110
	v_fmac_f16_e32 v124, v8, v14
	v_fmac_f16_e32 v53, v11, v21
	v_add_f16_e32 v7, v50, v52
	v_add_f16_e32 v8, v48, v54
	v_sub_f16_e32 v10, v50, v48
	v_sub_f16_e32 v11, v52, v54
	v_add_f16_e64 v9, v129, v48
	v_add_f16_e64 v2, v128, v96
	v_sub_f16_e32 v6, v96, v105
	v_sub_f16_e32 v14, v48, v54
	;; [unrolled: 1-line block ×6, first 2 shown]
	v_add_f16_e32 v126, v106, v107
	v_add_f16_e64 v144, v45, v114
	v_sub_f16_e32 v19, v116, v110
	v_sub_f16_e32 v20, v108, v109
	;; [unrolled: 1-line block ×3, first 2 shown]
	v_fma_f16 v0, -0.5, v0, v128
	v_fmac_f16_e64 v128, -0.5, v1
	v_add_f16_e32 v1, v3, v4
	v_add_f16_e32 v3, v97, v120
	;; [unrolled: 1-line block ×3, first 2 shown]
	v_sub_f16_e32 v113, v97, v95
	v_sub_f16_e32 v116, v120, v103
	v_add_f16_e32 v127, v114, v115
	v_add_f16_e32 v15, v15, v16
	v_sub_f16_e32 v16, v114, v106
	v_add_f16_e32 v17, v17, v108
	v_fma_f16 v18, -0.5, v18, v130
	v_sub_f16_e32 v108, v114, v115
	v_sub_f16_e64 v149, v106, v107
	v_sub_f16_e32 v114, v106, v114
	v_sub_f16_e64 v150, v107, v115
	v_fmac_f16_e64 v130, -0.5, v22
	v_sub_f16_e32 v23, v109, v110
	v_fma_f16 v7, -0.5, v7, v129
	v_fmac_f16_e64 v129, -0.5, v8
	v_add_f16_e32 v8, v10, v11
	v_add_f16_e32 v10, v49, v51
	;; [unrolled: 1-line block ×6, first 2 shown]
	v_sub_f16_e32 v118, v95, v103
	v_sub_f16_e32 v123, v49, v51
	v_add_f16_e32 v47, v47, v48
	v_sub_f16_e32 v48, v95, v97
	v_add_f16_e32 v95, v96, v111
	v_fma_f16 v111, -0.5, v126, v45
	v_add_f16_e64 v106, v144, v106
	v_fma_f16 v3, -0.5, v3, v12
	v_fmac_f16_e32 v12, -0.5, v4
	v_add_f16_e32 v4, v113, v116
	v_fma_f16 v45, -0.5, v127, v45
	v_add_f16_e64 v113, v114, v150
	v_fma_f16 v114, 0xbb9c, v149, v130
	v_fmac_f16_e64 v130, 0x3b9c, v149
	v_sub_f16_e32 v5, v104, v102
	v_sub_f16_e32 v117, v97, v120
	;; [unrolled: 1-line block ×4, first 2 shown]
	v_add_f16_e32 v21, v21, v23
	v_sub_f16_e32 v22, v124, v49
	v_sub_f16_e32 v23, v53, v51
	v_fma_f16 v10, -0.5, v10, v46
	v_add_f16_e32 v49, v119, v49
	v_sub_f16_e32 v13, v50, v52
	v_add_f16_e32 v2, v2, v104
	v_sub_f16_e32 v50, v103, v120
	v_fmac_f16_e32 v46, -0.5, v11
	v_add_f16_e32 v9, v9, v52
	v_sub_f16_e64 v147, v115, v107
	v_fma_f16 v104, 0xbb9c, v123, v129
	v_fmac_f16_e64 v129, 0x3b9c, v123
	v_add_f16_e32 v17, v17, v109
	v_fmamk_f16 v109, v108, 0x3b9c, v18
	v_add_f16_e32 v52, v112, v97
	v_add_f16_e32 v106, v106, v107
	v_fmamk_f16 v107, v19, 0xbb9c, v111
	v_fmac_f16_e32 v18, 0xbb9c, v108
	v_fmac_f16_e32 v114, 0x38b4, v108
	v_fmac_f16_e64 v130, 0xb8b4, v108
	v_fmamk_f16 v108, v20, 0x3b9c, v45
	v_fmac_f16_e32 v45, 0xbb9c, v20
	v_fma_f16 v96, 0xbb9c, v117, v128
	v_fmac_f16_e64 v128, 0x3b9c, v117
	v_fmamk_f16 v97, v5, 0x3b9c, v12
	v_fmac_f16_e32 v12, 0xbb9c, v5
	v_fmac_f16_e32 v111, 0x3b9c, v19
	v_sub_f16_e32 v122, v51, v53
	v_add_f16_e32 v22, v22, v23
	v_fmamk_f16 v23, v125, 0x3b9c, v7
	v_add_f16_e32 v49, v49, v51
	v_fmamk_f16 v51, v14, 0xbb9c, v10
	v_fmac_f16_e32 v7, 0xbb9c, v125
	v_add_f16_e32 v2, v2, v102
	v_add_f16_e32 v48, v48, v50
	v_fmamk_f16 v50, v118, 0x3b9c, v0
	v_fmac_f16_e32 v0, 0xbb9c, v118
	v_fmamk_f16 v102, v13, 0x3b9c, v46
	v_fmac_f16_e32 v46, 0xbb9c, v13
	v_add_f16_e32 v9, v9, v54
	v_fmac_f16_e32 v10, 0x3b9c, v14
	v_fmamk_f16 v54, v6, 0xbb9c, v3
	v_fmac_f16_e32 v3, 0x3b9c, v6
	v_add_f16_e64 v16, v16, v147
	v_fmac_f16_e64 v129, 0xb8b4, v125
	v_fmac_f16_e64 v109, 0x38b4, v149
	v_fmac_f16_e32 v104, 0x38b4, v125
	v_add_f16_e32 v52, v52, v120
	v_fmac_f16_e32 v107, 0xb8b4, v20
	v_fmac_f16_e64 v18, 0xb8b4, v149
	v_fmac_f16_e32 v108, 0xb8b4, v19
	v_fmac_f16_e32 v45, 0x38b4, v19
	v_fmac_f16_e64 v128, 0xb8b4, v118
	v_fmac_f16_e32 v12, 0x38b4, v6
	v_fmac_f16_e32 v111, 0x38b4, v20
	;; [unrolled: 1-line block ×4, first 2 shown]
	v_add_f16_e32 v11, v121, v122
	v_fmac_f16_e32 v7, 0xb8b4, v123
	v_fmac_f16_e32 v50, 0x38b4, v117
	;; [unrolled: 1-line block ×8, first 2 shown]
	v_add_f16_e32 v17, v17, v110
	v_add_f16_e32 v2, v2, v105
	v_fmac_f16_e32 v96, 0x38b4, v118
	v_fmac_f16_e64 v129, 0x34f2, v8
	v_add_f16_e32 v105, v106, v115
	v_fmac_f16_e32 v109, 0x34f2, v15
	v_fmac_f16_e32 v104, 0x34f2, v8
	v_add_f16_e32 v8, v52, v103
	v_fmac_f16_e32 v97, 0xb8b4, v6
	v_fmac_f16_e32 v107, 0x34f2, v16
	;; [unrolled: 1-line block ×3, first 2 shown]
	v_fmac_f16_e64 v130, 0x34f2, v21
	v_fmac_f16_e32 v18, 0x34f2, v15
	v_add_f16_e32 v15, v49, v53
	v_fmac_f16_e32 v108, 0x34f2, v113
	v_fmac_f16_e32 v45, 0x34f2, v113
	v_fmac_f16_e64 v128, 0x34f2, v1
	v_fmac_f16_e32 v12, 0x34f2, v4
	v_fmac_f16_e32 v111, 0x34f2, v16
	v_fmac_f16_e32 v23, 0x34f2, v47
	v_fmac_f16_e32 v51, 0x34f2, v22
	v_fmac_f16_e32 v7, 0x34f2, v47
	v_fmac_f16_e32 v50, 0x34f2, v95
	v_fmac_f16_e32 v0, 0x34f2, v95
	v_fmac_f16_e32 v46, 0x34f2, v11
	v_fmac_f16_e32 v102, 0x34f2, v11
	v_fmac_f16_e32 v10, 0x34f2, v22
	v_fmac_f16_e32 v54, 0x34f2, v48
	v_fmac_f16_e32 v3, 0x34f2, v48
	v_fmac_f16_e32 v96, 0x34f2, v1
	v_pack_b32_f16 v1, v105, v17
	v_pack_b32_f16 v2, v8, v2
	v_fmac_f16_e32 v97, 0x34f2, v4
	v_pack_b32_f16 v8, v107, v109
	v_pack_b32_f16 v5, v15, v9
	;; [unrolled: 1-line block ×13, first 2 shown]
	ds_store_2addr_b32 v100, v1, v8 offset1:45
	ds_store_2addr_b32 v100, v9, v11 offset0:90 offset1:135
	ds_store_b32 v100, v12 offset:720
	ds_store_2addr_b32 v99, v5, v13 offset1:45
	ds_store_2addr_b32 v99, v14, v6 offset0:90 offset1:135
	ds_store_b32 v99, v7 offset:720
	;; [unrolled: 3-line block ×3, first 2 shown]
	global_wb scope:SCOPE_SE
	s_wait_dscnt 0x0
	s_barrier_signal -1
	s_barrier_wait -1
	global_inv scope:SCOPE_SE
	ds_load_2addr_b32 v[0:1], v92 offset0:28 offset1:163
	ds_load_2addr_b32 v[2:3], v91 offset0:70 offset1:205
	;; [unrolled: 1-line block ×5, first 2 shown]
	ds_load_b32 v14, v55 offset:7560
	ds_load_2addr_b32 v[10:11], v55 offset1:135
	ds_load_2addr_b32 v[12:13], v83 offset0:14 offset1:149
	global_wb scope:SCOPE_SE
	s_wait_dscnt 0x0
	s_barrier_signal -1
	s_barrier_wait -1
	global_inv scope:SCOPE_SE
	v_lshrrev_b32_e32 v15, 16, v1
	v_mul_f16_e64 v16, v164, v1
	v_lshrrev_b32_e32 v17, 16, v2
	v_mul_f16_e64 v18, v163, v2
	;; [unrolled: 2-line block ×11, first 2 shown]
	v_fma_f16 v15, v27, v15, -v16
	v_mul_f16_e64 v16, v163, v17
	v_fma_f16 v17, v28, v17, -v18
	v_mul_f16_e64 v18, v162, v19
	v_mul_f16_e64 v103, v161, v21
	v_fma_f16 v21, v31, v21, -v22
	v_fma_f16 v19, v32, v19, -v20
	v_mul_f16_e64 v20, v157, v23
	v_fma_f16 v22, v33, v23, -v45
	v_mul_f16_e64 v23, v158, v46
	;; [unrolled: 2-line block ×3, first 2 shown]
	v_mul_f16_e64 v47, v152, v50
	v_fma_f16 v50, v29, v50, -v51
	v_fma_f16 v48, v30, v48, -v49
	v_lshrrev_b32_e32 v97, 16, v11
	v_mul_f16_e64 v49, v148, v52
	v_fma_f16 v51, v25, v52, -v53
	v_mul_f16_e64 v52, v145, v54
	v_fma_f16 v53, v26, v54, -v95
	v_lshrrev_b32_e32 v99, 16, v13
	v_fmac_f16_e32 v102, v27, v1
	v_fmac_f16_e32 v16, v28, v2
	;; [unrolled: 1-line block ×3, first 2 shown]
	v_add_f16_e32 v1, v96, v15
	v_add_f16_e32 v2, v15, v17
	v_sub_f16_e32 v3, v15, v17
	v_add_f16_e32 v15, v50, v48
	v_lshrrev_b32_e32 v98, 16, v12
	v_lshrrev_b32_e32 v100, 16, v0
	v_fmac_f16_e32 v103, v31, v4
	v_add_f16_e32 v4, v97, v21
	v_fmac_f16_e32 v20, v33, v5
	v_fmac_f16_e32 v23, v34, v6
	;; [unrolled: 1-line block ×6, first 2 shown]
	v_add_f16_e32 v25, v51, v53
	v_add_f16_e32 v5, v21, v19
	;; [unrolled: 1-line block ×4, first 2 shown]
	v_fmac_f16_e32 v99, -0.5, v15
	v_add_f16_e32 v15, v102, v16
	v_sub_f16_e32 v6, v21, v19
	v_add_f16_e32 v7, v98, v22
	v_sub_f16_e32 v9, v22, v45
	v_add_f16_e32 v22, v100, v51
	v_fmac_f16_e32 v96, -0.5, v2
	v_add_f16_e32 v2, v4, v19
	v_add_f16_e32 v19, v103, v18
	v_fmac_f16_e32 v100, -0.5, v25
	v_add_f16_e32 v25, v12, v20
	v_sub_f16_e32 v27, v20, v23
	v_add_f16_e32 v20, v20, v23
	v_add_f16_e32 v29, v47, v46
	;; [unrolled: 1-line block ×3, first 2 shown]
	v_fmac_f16_e32 v97, -0.5, v5
	v_fmac_f16_e32 v98, -0.5, v8
	v_add_f16_e32 v5, v14, v48
	v_add_f16_e32 v8, v10, v102
	v_sub_f16_e32 v14, v102, v16
	v_fma_f16 v10, -0.5, v15, v10
	v_add_f16_e32 v1, v1, v17
	v_add_f16_e32 v4, v7, v45
	;; [unrolled: 1-line block ×4, first 2 shown]
	v_sub_f16_e32 v22, v103, v18
	v_fmac_f16_e32 v11, -0.5, v19
	v_sub_f16_e32 v21, v50, v48
	v_sub_f16_e32 v26, v51, v53
	v_add_f16_e32 v28, v13, v47
	v_sub_f16_e32 v30, v47, v46
	v_add_f16_e32 v31, v0, v49
	v_sub_f16_e32 v33, v49, v52
	v_fmac_f16_e32 v13, -0.5, v29
	v_fmac_f16_e32 v0, -0.5, v32
	v_fma_f16 v12, -0.5, v20, v12
	v_add_f16_e32 v8, v8, v16
	v_fmamk_f16 v16, v14, 0x3aee, v96
	v_fmamk_f16 v20, v3, 0xbaee, v10
	v_fmac_f16_e32 v96, 0xbaee, v14
	v_fmac_f16_e32 v10, 0x3aee, v3
	v_add_f16_e32 v14, v17, v18
	v_fmamk_f16 v17, v22, 0x3aee, v97
	v_fmamk_f16 v3, v6, 0xbaee, v11
	v_fmac_f16_e32 v97, 0xbaee, v22
	v_fmac_f16_e32 v11, 0x3aee, v6
	v_add_f16_e32 v18, v25, v23
	v_fmamk_f16 v19, v27, 0x3aee, v98
	v_fmac_f16_e32 v98, 0xbaee, v27
	v_add_f16_e32 v22, v28, v46
	v_fmamk_f16 v23, v30, 0x3aee, v99
	;; [unrolled: 3-line block ×3, first 2 shown]
	v_fmac_f16_e32 v100, 0xbaee, v33
	v_fmamk_f16 v6, v9, 0xbaee, v12
	v_fmac_f16_e32 v12, 0x3aee, v9
	v_fmamk_f16 v9, v21, 0xbaee, v13
	;; [unrolled: 2-line block ×3, first 2 shown]
	v_fmac_f16_e32 v0, 0x3aee, v26
	v_pack_b32_f16 v1, v8, v1
	v_pack_b32_f16 v8, v20, v16
	;; [unrolled: 1-line block ×15, first 2 shown]
	ds_store_2addr_b32 v55, v1, v8 offset1:225
	ds_store_b32 v55, v10 offset:1800
	ds_store_2addr_b32 v134, v2, v3 offset1:225
	ds_store_b32 v134, v11 offset:1800
	ds_store_2addr_b32 v101, v4, v6 offset0:16 offset1:241
	ds_store_b32 v55, v12 offset:4680
	ds_store_2addr_b32 v132, v5, v9 offset1:225
	ds_store_b32 v132, v13 offset:1800
	ds_store_2addr_b32 v133, v7, v14 offset0:6 offset1:231
	ds_store_b32 v131, v0 offset:7200
	global_wb scope:SCOPE_SE
	s_wait_dscnt 0x0
	s_barrier_signal -1
	s_barrier_wait -1
	global_inv scope:SCOPE_SE
	ds_load_2addr_b32 v[0:1], v55 offset1:135
	ds_load_2addr_b32 v[2:3], v92 offset0:28 offset1:163
	ds_load_2addr_b32 v[4:5], v91 offset0:70 offset1:205
	;; [unrolled: 1-line block ×6, first 2 shown]
	ds_load_b32 v14, v55 offset:7560
	s_wait_dscnt 0x7
	v_lshrrev_b32_e32 v15, 16, v0
	s_wait_dscnt 0x6
	v_lshrrev_b32_e32 v16, 16, v3
	s_wait_dscnt 0x5
	v_lshrrev_b32_e32 v17, 16, v4
	v_mul_f16_e64 v27, v146, v3
	s_wait_dscnt 0x4
	v_lshrrev_b32_e32 v19, 16, v6
	v_lshrrev_b32_e32 v20, 16, v5
	;; [unrolled: 1-line block ×3, first 2 shown]
	s_wait_dscnt 0x2
	v_lshrrev_b32_e32 v23, 16, v10
	v_mul_f16_e64 v30, v142, v4
	v_mul_f16_e64 v31, v143, v6
	;; [unrolled: 1-line block ×4, first 2 shown]
	s_wait_dscnt 0x1
	v_lshrrev_b32_e32 v25, 16, v12
	v_lshrrev_b32_e32 v26, 16, v11
	v_lshrrev_b32_e32 v28, 16, v13
	s_wait_dscnt 0x0
	v_lshrrev_b32_e32 v29, 16, v14
	v_mul_f16_e64 v34, v141, v10
	v_mul_f16_e64 v45, v137, v12
	;; [unrolled: 1-line block ×6, first 2 shown]
	v_fma_f16 v16, v43, v16, -v27
	v_mul_f16_e64 v27, v142, v17
	v_fma_f16 v17, v44, v17, -v30
	v_mul_f16_e64 v30, v143, v19
	;; [unrolled: 2-line block ×5, first 2 shown]
	v_lshrrev_b32_e32 v18, 16, v1
	v_lshrrev_b32_e32 v21, 16, v8
	v_fma_f16 v23, v40, v23, -v34
	v_mul_f16_e64 v34, v137, v25
	v_fma_f16 v25, v37, v25, -v45
	v_mul_f16_e64 v45, v138, v26
	;; [unrolled: 2-line block ×4, first 2 shown]
	v_lshrrev_b32_e32 v49, 16, v9
	v_lshrrev_b32_e32 v50, 16, v2
	v_fma_f16 v29, v36, v29, -v48
	v_fmac_f16_e32 v51, v43, v3
	v_fmac_f16_e32 v27, v44, v4
	;; [unrolled: 1-line block ×6, first 2 shown]
	v_add_f16_e32 v4, v15, v16
	v_add_f16_e32 v10, v19, v20
	v_fmac_f16_e32 v34, v37, v12
	v_fmac_f16_e32 v45, v38, v11
	;; [unrolled: 1-line block ×4, first 2 shown]
	v_sub_f16_e32 v6, v19, v20
	v_add_f16_e32 v7, v18, v19
	v_add_f16_e32 v12, v21, v22
	;; [unrolled: 1-line block ×4, first 2 shown]
	v_sub_f16_e32 v3, v16, v17
	v_add_f16_e32 v5, v16, v17
	v_sub_f16_e32 v11, v22, v23
	v_sub_f16_e32 v14, v25, v26
	v_add_f16_e32 v16, v49, v25
	v_sub_f16_e32 v22, v28, v29
	v_add_f16_e32 v25, v50, v28
	v_add_f16_e32 v28, v28, v29
	;; [unrolled: 1-line block ×6, first 2 shown]
	v_fmac_f16_e32 v18, -0.5, v10
	v_sub_f16_e32 v10, v30, v31
	v_add_f16_e32 v30, v32, v33
	v_add_f16_e32 v7, v7, v20
	;; [unrolled: 1-line block ×4, first 2 shown]
	v_fmac_f16_e32 v21, -0.5, v13
	v_sub_f16_e32 v13, v32, v33
	v_add_f16_e32 v23, v9, v34
	v_add_f16_e32 v32, v34, v45
	v_fmac_f16_e32 v49, -0.5, v19
	v_sub_f16_e32 v19, v34, v45
	v_add_f16_e32 v34, v46, v47
	v_add_f16_e32 v35, v0, v51
	;; [unrolled: 4-line block ×3, first 2 shown]
	v_fmac_f16_e32 v50, -0.5, v28
	v_sub_f16_e32 v28, v46, v47
	v_fma_f16 v0, -0.5, v36, v0
	v_fmac_f16_e32 v1, -0.5, v37
	v_fma_f16 v8, -0.5, v30, v8
	v_fmac_f16_e32 v9, -0.5, v32
	v_fmac_f16_e32 v2, -0.5, v34
	v_add_f16_e32 v25, v25, v29
	v_fmamk_f16 v29, v5, 0x3aee, v15
	v_fmac_f16_e32 v15, 0xbaee, v5
	v_add_f16_e32 v5, v17, v31
	v_fmamk_f16 v17, v10, 0x3aee, v18
	v_fmac_f16_e32 v18, 0xbaee, v10
	;; [unrolled: 3-line block ×5, first 2 shown]
	v_fmamk_f16 v28, v3, 0xbaee, v0
	v_fmac_f16_e32 v0, 0x3aee, v3
	v_add_f16_e32 v27, v35, v27
	v_fmamk_f16 v3, v6, 0xbaee, v1
	v_fmac_f16_e32 v1, 0x3aee, v6
	v_fmamk_f16 v6, v11, 0xbaee, v8
	v_fmac_f16_e32 v8, 0x3aee, v11
	v_fmamk_f16 v11, v14, 0xbaee, v9
	v_fmac_f16_e32 v9, 0x3aee, v14
	v_fmamk_f16 v14, v22, 0xbaee, v2
	v_fmac_f16_e32 v2, 0x3aee, v22
	v_pack_b32_f16 v5, v5, v7
	v_pack_b32_f16 v7, v10, v12
	;; [unrolled: 1-line block ×15, first 2 shown]
	ds_store_b32 v55, v13 offset:2700
	ds_store_b32 v55, v0 offset:5400
	ds_store_2addr_b32 v55, v4, v5 offset1:135
	ds_store_2addr_b32 v90, v3, v6 offset0:42 offset1:177
	ds_store_2addr_b32 v94, v1, v8 offset0:77 offset1:212
	;; [unrolled: 1-line block ×3, first 2 shown]
	ds_store_b32 v55, v12 offset:2160
	ds_store_2addr_b32 v77, v11, v14 offset0:56 offset1:191
	ds_store_2addr_b32 v93, v9, v2 offset0:91 offset1:226
	global_wb scope:SCOPE_SE
	s_wait_dscnt 0x0
	s_barrier_signal -1
	s_barrier_wait -1
	global_inv scope:SCOPE_SE
	ds_load_2addr_b32 v[6:7], v55 offset1:135
	ds_load_2addr_b32 v[0:1], v92 offset0:28 offset1:163
	ds_load_2addr_b32 v[4:5], v91 offset0:70 offset1:205
	ds_load_2addr_b32 v[2:3], v90 offset0:42 offset1:177
	v_mad_co_u64_u32 v[8:9], null, s18, v24, 0
	v_mad_co_u64_u32 v[22:23], null, s16, v66, 0
	s_wait_dscnt 0x3
	v_lshrrev_b32_e32 v10, 16, v6
	v_mul_f16_e32 v11, v89, v6
	s_wait_dscnt 0x2
	v_lshrrev_b32_e32 v12, 16, v1
	v_mul_f16_e32 v13, v88, v1
	;; [unrolled: 3-line block ×3, first 2 shown]
	v_fma_f16 v11, v70, v10, -v11
	v_lshrrev_b32_e32 v17, 16, v7
	v_fma_f16 v13, v71, v12, -v13
	v_mul_f16_e32 v15, v86, v7
	v_mul_f16_e32 v18, v89, v10
	v_cvt_f32_f16_e32 v11, v11
	v_fma_f16 v14, v69, v16, -v14
	v_cvt_f32_f16_e32 v13, v13
	v_fma_f16 v15, v67, v17, -v15
	v_mul_f16_e32 v19, v88, v12
	v_cvt_f64_f32_e32 v[10:11], v11
	v_cvt_f32_f16_e32 v14, v14
	v_cvt_f64_f32_e32 v[12:13], v13
	v_fmac_f16_e32 v18, v70, v6
	v_cvt_f32_f16_e32 v6, v15
	v_fmac_f16_e32 v19, v71, v1
	v_cvt_f64_f32_e32 v[14:15], v14
	v_mul_f16_e32 v1, v87, v16
	v_cvt_f32_f16_e32 v18, v18
	v_mul_f16_e32 v27, v86, v17
	v_cvt_f64_f32_e32 v[16:17], v6
	s_wait_dscnt 0x0
	v_lshrrev_b32_e32 v25, 16, v2
	v_cvt_f32_f16_e32 v6, v19
	v_fmac_f16_e32 v1, v69, v4
	v_cvt_f64_f32_e32 v[18:19], v18
	v_mul_f16_e32 v4, v85, v2
	v_mul_f16_e32 v29, v85, v25
	v_cvt_f64_f32_e32 v[20:21], v6
	v_cvt_f32_f16_e32 v1, v1
	v_fmac_f16_e32 v27, v67, v7
	v_fma_f16 v4, v68, v25, -v4
	v_fmac_f16_e32 v29, v68, v2
	v_mov_b32_e32 v2, v23
	v_cvt_f64_f32_e32 v[25:26], v1
	v_cvt_f32_f16_e32 v6, v27
	v_mov_b32_e32 v1, v9
	v_cvt_f32_f16_e32 v9, v29
	v_cvt_f32_f16_e32 v4, v4
	s_delay_alu instid0(VALU_DEP_4) | instskip(NEXT) | instid1(VALU_DEP_4)
	v_cvt_f64_f32_e32 v[27:28], v6
	v_mad_co_u64_u32 v[6:7], null, s19, v24, v[1:2]
	s_delay_alu instid0(VALU_DEP_4)
	v_cvt_f64_f32_e32 v[31:32], v9
	v_mad_co_u64_u32 v[1:2], null, s17, v66, v[2:3]
	v_cvt_f64_f32_e32 v[29:30], v4
	s_mul_u64 s[18:19], s[16:17], 0xa8c
	v_mul_f64_e32 v[33:34], s[22:23], v[10:11]
	v_mov_b32_e32 v9, v6
	v_mul_f64_e32 v[12:13], s[22:23], v[12:13]
	v_mov_b32_e32 v23, v1
	v_lshrrev_b32_e32 v1, 16, v5
	v_mul_f64_e32 v[14:15], s[22:23], v[14:15]
	v_lshlrev_b64_e32 v[8:9], 2, v[8:9]
	s_delay_alu instid0(VALU_DEP_4) | instskip(NEXT) | instid1(VALU_DEP_4)
	v_lshlrev_b64_e32 v[10:11], 2, v[22:23]
	v_mul_f16_e32 v2, v84, v1
	v_mul_f64_e32 v[6:7], s[22:23], v[16:17]
	s_delay_alu instid0(VALU_DEP_4) | instskip(SKIP_1) | instid1(VALU_DEP_4)
	v_add_co_u32 v4, vcc_lo, s0, v8
	v_mul_f64_e32 v[16:17], s[22:23], v[18:19]
	v_fmac_f16_e32 v2, v65, v5
	v_mul_f64_e32 v[18:19], s[22:23], v[20:21]
	s_wait_alu 0xfffd
	v_add_co_ci_u32_e32 v8, vcc_lo, s1, v9, vcc_lo
	v_add_co_u32 v22, vcc_lo, v4, v10
	v_cvt_f32_f16_e32 v2, v2
	v_mul_f64_e32 v[20:21], s[22:23], v[25:26]
	s_wait_alu 0xfffd
	v_add_co_ci_u32_e32 v23, vcc_lo, v8, v11, vcc_lo
	s_wait_alu 0xfffe
	v_add_co_u32 v26, vcc_lo, v22, s18
	v_cvt_f64_f32_e32 v[35:36], v2
	v_mul_f64_e32 v[24:25], s[22:23], v[27:28]
	s_wait_alu 0xfffd
	v_add_co_ci_u32_e32 v27, vcc_lo, s19, v23, vcc_lo
	v_mul_f64_e32 v[10:11], s[22:23], v[31:32]
	v_mul_f64_e32 v[8:9], s[22:23], v[29:30]
	v_and_or_b32 v2, 0x1ff, v34, v33
	v_lshrrev_b32_e32 v4, 8, v34
	v_and_or_b32 v12, 0x1ff, v13, v12
	v_bfe_u32 v28, v34, 20, 11
	v_lshrrev_b32_e32 v30, 8, v13
	v_cmp_ne_u32_e32 vcc_lo, 0, v2
	v_and_or_b32 v14, 0x1ff, v15, v14
	v_bfe_u32 v31, v13, 20, 11
	v_lshrrev_b32_e32 v32, 8, v15
	v_sub_nc_u32_e32 v40, 0x3f1, v28
	s_wait_alu 0xfffd
	v_cndmask_b32_e64 v2, 0, 1, vcc_lo
	v_cmp_ne_u32_e32 vcc_lo, 0, v12
	v_and_or_b32 v6, 0x1ff, v7, v6
	v_add_nc_u32_e32 v28, 0xfffffc10, v28
	v_bfe_u32 v33, v15, 20, 11
	v_and_or_b32 v16, 0x1ff, v17, v16
	s_wait_alu 0xfffd
	v_cndmask_b32_e64 v12, 0, 1, vcc_lo
	v_cmp_ne_u32_e32 vcc_lo, 0, v14
	v_and_or_b32 v18, 0x1ff, v19, v18
	v_and_or_b32 v2, 0xffe, v4, v2
	v_bfe_u32 v42, v19, 20, 11
	v_lshrrev_b32_e32 v38, 8, v17
	s_wait_alu 0xfffd
	v_cndmask_b32_e64 v14, 0, 1, vcc_lo
	v_cmp_ne_u32_e32 vcc_lo, 0, v6
	v_and_or_b32 v20, 0x1ff, v21, v20
	v_bfe_u32 v45, v21, 20, 11
	v_sub_nc_u32_e32 v53, 0x3f1, v42
	v_and_or_b32 v12, 0xffe, v30, v12
	s_wait_alu 0xfffd
	v_cndmask_b32_e64 v6, 0, 1, vcc_lo
	v_cmp_ne_u32_e32 vcc_lo, 0, v16
	v_and_or_b32 v24, 0x1ff, v25, v24
	v_lshrrev_b32_e32 v41, 8, v19
	v_and_or_b32 v10, 0x1ff, v11, v10
	v_sub_nc_u32_e32 v43, 0x3f1, v31
	s_wait_alu 0xfffd
	v_cndmask_b32_e64 v16, 0, 1, vcc_lo
	v_cmp_ne_u32_e32 vcc_lo, 0, v18
	v_add_nc_u32_e32 v31, 0xfffffc10, v31
	v_bfe_u32 v48, v25, 20, 11
	v_sub_nc_u32_e32 v54, 0x3f1, v45
	v_and_or_b32 v14, 0xffe, v32, v14
	s_wait_alu 0xfffd
	v_cndmask_b32_e64 v4, 0, 1, vcc_lo
	v_cmp_ne_u32_e32 vcc_lo, 0, v20
	v_med3_i32 v30, v53, 0, 13
	v_and_or_b32 v16, 0xffe, v38, v16
	v_or_b32_e32 v38, 0x1000, v2
	v_lshl_or_b32 v53, v28, 12, v2
	s_wait_alu 0xfffd
	v_cndmask_b32_e64 v18, 0, 1, vcc_lo
	v_cmp_ne_u32_e32 vcc_lo, 0, v24
	v_lshrrev_b32_e32 v29, 16, v34
	v_lshrrev_b32_e32 v34, 8, v7
	v_bfe_u32 v39, v17, 20, 11
	v_lshrrev_b32_e32 v44, 8, v21
	s_wait_alu 0xfffd
	v_cndmask_b32_e64 v20, 0, 1, vcc_lo
	v_cmp_ne_u32_e32 vcc_lo, 0, v10
	v_sub_nc_u32_e32 v46, 0x3f1, v33
	v_add_nc_u32_e32 v33, 0xfffffc10, v33
	v_sub_nc_u32_e32 v66, 0x3f1, v48
	v_med3_i32 v32, v54, 0, 13
	s_wait_alu 0xfffd
	v_cndmask_b32_e64 v10, 0, 1, vcc_lo
	v_cmp_ne_u32_e32 vcc_lo, 0, v2
	v_and_or_b32 v4, 0xffe, v41, v4
	v_or_b32_e32 v41, 0x1000, v12
	v_lshl_or_b32 v54, v31, 12, v12
	v_lshrrev_b32_e32 v50, 8, v11
	s_wait_alu 0xfffd
	v_cndmask_b32_e64 v2, 0, 1, vcc_lo
	v_cmp_ne_u32_e32 vcc_lo, 0, v12
	v_sub_nc_u32_e32 v52, 0x3f1, v39
	v_add_nc_u32_e32 v39, 0xfffffc10, v39
	v_and_or_b32 v6, 0xffe, v34, v6
	v_med3_i32 v34, v66, 0, 13
	s_wait_alu 0xfffd
	v_cndmask_b32_e64 v12, 0, 1, vcc_lo
	v_cmp_ne_u32_e32 vcc_lo, 0, v14
	v_and_or_b32 v18, 0xffe, v44, v18
	v_or_b32_e32 v44, 0x1000, v14
	v_lshl_or_b32 v66, v33, 12, v14
	v_lshrrev_b32_e32 v47, 8, v25
	s_wait_alu 0xfffd
	v_cndmask_b32_e64 v14, 0, 1, vcc_lo
	v_cmp_ne_u32_e32 vcc_lo, 0, v16
	v_med3_i32 v40, v40, 0, 13
	v_add_nc_u32_e32 v42, 0xfffffc10, v42
	v_and_or_b32 v10, 0xffe, v50, v10
	v_or_b32_e32 v50, 0x1000, v16
	v_lshl_or_b32 v69, v39, 12, v16
	s_wait_alu 0xfffd
	v_cndmask_b32_e64 v16, 0, 1, vcc_lo
	v_cmp_ne_u32_e32 vcc_lo, 0, v4
	v_bfe_u32 v37, v7, 20, 11
	v_med3_i32 v43, v43, 0, 13
	v_add_nc_u32_e32 v45, 0xfffffc10, v45
	v_and_or_b32 v20, 0xffe, v47, v20
	v_lshrrev_b32_e32 v70, v40, v38
	v_or_b32_e32 v71, 0x1000, v4
	v_lshl_or_b32 v85, v42, 12, v4
	s_wait_alu 0xfffd
	v_cndmask_b32_e64 v4, 0, 1, vcc_lo
	v_cmp_ne_u32_e32 vcc_lo, 0, v18
	v_sub_nc_u32_e32 v49, 0x3f1, v37
	v_med3_i32 v46, v46, 0, 13
	v_add_nc_u32_e32 v48, 0xfffffc10, v48
	v_or_b32_e32 v86, 0x1000, v18
	v_lshrrev_b32_e32 v87, v43, v41
	v_lshl_or_b32 v88, v45, 12, v18
	s_wait_alu 0xfffd
	v_cndmask_b32_e64 v18, 0, 1, vcc_lo
	v_cmp_ne_u32_e32 vcc_lo, 0, v20
	v_lshlrev_b32_e32 v40, v40, v70
	v_med3_i32 v49, v49, 0, 13
	v_or_b32_e32 v47, 0x1000, v6
	v_lshrrev_b32_e32 v68, v46, v44
	v_or_b32_e32 v89, 0x1000, v20
	v_lshl_or_b32 v90, v48, 12, v20
	s_wait_alu 0xfffd
	v_cndmask_b32_e64 v20, 0, 1, vcc_lo
	v_lshlrev_b32_e32 v43, v43, v87
	v_cmp_ne_u32_e32 vcc_lo, v40, v38
	v_med3_i32 v24, v52, 0, 13
	v_lshrrev_b32_e32 v91, v49, v47
	v_lshlrev_b32_e32 v46, v46, v68
	v_lshrrev_b32_e32 v94, v30, v71
	s_wait_alu 0xfffd
	v_cndmask_b32_e64 v38, 0, 1, vcc_lo
	v_cmp_ne_u32_e32 vcc_lo, v43, v41
	v_lshrrev_b32_e32 v93, v24, v50
	v_lshlrev_b32_e32 v49, v49, v91
	v_lshrrev_b32_e32 v95, v32, v86
	v_lshlrev_b32_e32 v30, v30, v94
	s_wait_alu 0xfffd
	v_cndmask_b32_e64 v40, 0, 1, vcc_lo
	v_cmp_ne_u32_e32 vcc_lo, v46, v44
	v_lshlrev_b32_e32 v24, v24, v93
	v_lshrrev_b32_e32 v96, v34, v89
	v_lshlrev_b32_e32 v32, v32, v95
	v_or_b32_e32 v38, v70, v38
	s_wait_alu 0xfffd
	v_cndmask_b32_e64 v41, 0, 1, vcc_lo
	v_cmp_ne_u32_e32 vcc_lo, v49, v47
	v_lshlrev_b32_e32 v34, v34, v96
	v_bfe_u32 v51, v11, 20, 11
	v_or_b32_e32 v40, v87, v40
	v_add_nc_u32_e32 v37, 0xfffffc10, v37
	s_wait_alu 0xfffd
	v_cndmask_b32_e64 v43, 0, 1, vcc_lo
	v_cmp_ne_u32_e32 vcc_lo, v24, v50
	v_sub_nc_u32_e32 v67, 0x3f1, v51
	v_or_b32_e32 v41, v68, v41
	v_lshl_or_b32 v2, v2, 9, 0x7c00
	v_or_b32_e32 v43, v91, v43
	s_wait_alu 0xfffd
	v_cndmask_b32_e64 v24, 0, 1, vcc_lo
	v_cmp_ne_u32_e32 vcc_lo, v30, v71
	v_med3_i32 v52, v67, 0, 13
	v_lshl_or_b32 v67, v37, 12, v6
	v_lshl_or_b32 v16, v16, 9, 0x7c00
	v_or_b32_e32 v24, v93, v24
	s_wait_alu 0xfffd
	v_cndmask_b32_e64 v30, 0, 1, vcc_lo
	v_cmp_ne_u32_e32 vcc_lo, v32, v86
	v_lshl_or_b32 v12, v12, 9, 0x7c00
	v_lshl_or_b32 v14, v14, 9, 0x7c00
	;; [unrolled: 1-line block ×3, first 2 shown]
	v_or_b32_e32 v30, v94, v30
	s_wait_alu 0xfffd
	v_cndmask_b32_e64 v32, 0, 1, vcc_lo
	v_cmp_ne_u32_e32 vcc_lo, v34, v89
	v_lshl_or_b32 v18, v18, 9, 0x7c00
	v_lshrrev_b32_e32 v17, 16, v17
	v_lshrrev_b32_e32 v13, 16, v13
	v_or_b32_e32 v32, v95, v32
	s_wait_alu 0xfffd
	v_cndmask_b32_e64 v34, 0, 1, vcc_lo
	v_cmp_gt_i32_e32 vcc_lo, 1, v28
	v_lshrrev_b32_e32 v15, 16, v15
	v_lshrrev_b32_e32 v19, 16, v19
	v_lshl_or_b32 v20, v20, 9, 0x7c00
	v_or_b32_e32 v34, v96, v34
	s_wait_alu 0xfffd
	v_cndmask_b32_e32 v38, v53, v38, vcc_lo
	v_cmp_gt_i32_e32 vcc_lo, 1, v31
	v_or_b32_e32 v92, 0x1000, v10
	v_lshrrev_b32_e32 v21, 16, v21
	v_lshrrev_b32_e32 v7, 16, v7
	v_and_b32_e32 v44, 7, v38
	s_wait_alu 0xfffd
	v_cndmask_b32_e32 v40, v54, v40, vcc_lo
	v_cmp_gt_i32_e32 vcc_lo, 1, v33
	v_lshrrev_b32_e32 v38, 2, v38
	v_lshrrev_b32_e32 v97, v52, v92
	v_cmp_eq_u32_e64 s0, 3, v44
	s_wait_alu 0xfffd
	v_dual_cndmask_b32 v41, v66, v41 :: v_dual_and_b32 v46, 7, v40
	v_cmp_gt_i32_e32 vcc_lo, 1, v37
	v_lshrrev_b32_e32 v40, 2, v40
	s_delay_alu instid0(VALU_DEP_3) | instskip(NEXT) | instid1(VALU_DEP_4)
	v_cmp_lt_i32_e64 s1, 5, v46
	v_and_b32_e32 v47, 7, v41
	s_wait_alu 0xfffd
	v_cndmask_b32_e32 v43, v67, v43, vcc_lo
	v_cmp_gt_i32_e32 vcc_lo, 1, v39
	v_cmp_eq_u32_e64 s2, 3, v46
	v_lshrrev_b32_e32 v41, 2, v41
	v_cmp_lt_i32_e64 s3, 5, v47
	v_cmp_eq_u32_e64 s4, 3, v47
	s_wait_alu 0xfffd
	v_cndmask_b32_e32 v24, v69, v24, vcc_lo
	v_cmp_gt_i32_e32 vcc_lo, 1, v42
	v_and_b32_e32 v49, 7, v43
	v_lshrrev_b32_e32 v43, 2, v43
	s_delay_alu instid0(VALU_DEP_4)
	v_and_b32_e32 v50, 7, v24
	s_wait_alu 0xfffd
	v_cndmask_b32_e32 v30, v85, v30, vcc_lo
	v_cmp_gt_i32_e32 vcc_lo, 1, v45
	v_lshrrev_b32_e32 v24, 2, v24
	v_cmp_lt_i32_e64 s5, 5, v49
	v_cmp_lt_i32_e64 s7, 5, v50
	v_cmp_eq_u32_e64 s8, 3, v50
	s_wait_alu 0xfffd
	v_cndmask_b32_e32 v32, v88, v32, vcc_lo
	v_cmp_gt_i32_e32 vcc_lo, 1, v48
	v_cmp_eq_u32_e64 s6, 3, v49
	s_delay_alu instid0(VALU_DEP_3)
	v_and_b32_e32 v46, 7, v32
	s_wait_alu 0xfffd
	v_cndmask_b32_e32 v34, v90, v34, vcc_lo
	v_cmp_lt_i32_e32 vcc_lo, 5, v44
	v_and_b32_e32 v44, 7, v30
	v_lshrrev_b32_e32 v30, 2, v30
	v_cmp_lt_i32_e64 s11, 5, v46
	v_cmp_eq_u32_e64 s12, 3, v46
	s_or_b32 vcc_lo, s0, vcc_lo
	v_cmp_lt_i32_e64 s9, 5, v44
	s_wait_alu 0xfffe
	v_add_co_ci_u32_e32 v38, vcc_lo, 0, v38, vcc_lo
	s_or_b32 vcc_lo, s2, s1
	v_cmp_eq_u32_e64 s10, 3, v44
	s_wait_alu 0xfffe
	v_add_co_ci_u32_e32 v40, vcc_lo, 0, v40, vcc_lo
	s_or_b32 vcc_lo, s4, s3
	v_lshrrev_b32_e32 v32, 2, v32
	s_wait_alu 0xfffe
	v_add_co_ci_u32_e32 v41, vcc_lo, 0, v41, vcc_lo
	s_or_b32 vcc_lo, s8, s7
	v_and_b32_e32 v47, 7, v34
	s_wait_alu 0xfffe
	v_add_co_ci_u32_e32 v24, vcc_lo, 0, v24, vcc_lo
	v_cmp_gt_i32_e32 vcc_lo, 31, v28
	v_lshrrev_b32_e32 v34, 2, v34
	v_cmp_lt_i32_e64 s13, 5, v47
	v_cmp_eq_u32_e64 s14, 3, v47
	s_mul_u64 s[2:3], s[16:17], s[20:21]
	s_wait_alu 0xfffd
	v_cndmask_b32_e32 v38, 0x7c00, v38, vcc_lo
	s_or_b32 vcc_lo, s10, s9
	s_wait_alu 0xfffe
	v_add_co_ci_u32_e32 v30, vcc_lo, 0, v30, vcc_lo
	v_cmp_gt_i32_e32 vcc_lo, 31, v31
	s_wait_alu 0xfffd
	v_cndmask_b32_e32 v40, 0x7c00, v40, vcc_lo
	s_or_b32 vcc_lo, s12, s11
	s_wait_alu 0xfffe
	v_add_co_ci_u32_e32 v32, vcc_lo, 0, v32, vcc_lo
	v_cmp_gt_i32_e32 vcc_lo, 31, v33
	s_wait_alu 0xfffd
	v_cndmask_b32_e32 v41, 0x7c00, v41, vcc_lo
	v_cmp_gt_i32_e32 vcc_lo, 31, v39
	s_wait_alu 0xfffd
	v_cndmask_b32_e32 v24, 0x7c00, v24, vcc_lo
	s_or_b32 vcc_lo, s14, s13
	s_wait_alu 0xfffe
	v_add_co_ci_u32_e32 v34, vcc_lo, 0, v34, vcc_lo
	v_cmp_eq_u32_e32 vcc_lo, 0x40f, v28
	s_wait_alu 0xfffd
	v_cndmask_b32_e32 v2, v38, v2, vcc_lo
	v_cmp_gt_i32_e32 vcc_lo, 31, v42
	s_delay_alu instid0(VALU_DEP_2)
	v_and_or_b32 v2, 0x8000, v29, v2
	s_wait_alu 0xfffd
	v_cndmask_b32_e32 v28, 0x7c00, v30, vcc_lo
	v_cmp_gt_i32_e32 vcc_lo, 31, v45
	s_wait_alu 0xfffd
	v_cndmask_b32_e32 v30, 0x7c00, v32, vcc_lo
	v_cmp_eq_u32_e32 vcc_lo, 0x40f, v39
	s_wait_alu 0xfffd
	v_cndmask_b32_e32 v16, v24, v16, vcc_lo
	v_cmp_eq_u32_e32 vcc_lo, 0x40f, v31
	s_delay_alu instid0(VALU_DEP_2) | instskip(SKIP_3) | instid1(VALU_DEP_3)
	v_and_or_b32 v16, 0x8000, v17, v16
	s_wait_alu 0xfffd
	v_cndmask_b32_e32 v12, v40, v12, vcc_lo
	v_cmp_eq_u32_e32 vcc_lo, 0x40f, v33
	v_and_b32_e32 v16, 0xffff, v16
	s_delay_alu instid0(VALU_DEP_3) | instskip(SKIP_4) | instid1(VALU_DEP_3)
	v_and_or_b32 v12, 0x8000, v13, v12
	s_wait_alu 0xfffd
	v_cndmask_b32_e32 v14, v41, v14, vcc_lo
	v_cmp_eq_u32_e32 vcc_lo, 0x40f, v42
	v_lshl_or_b32 v2, v2, 16, v16
	v_and_or_b32 v13, 0x8000, v15, v14
	s_wait_alu 0xfffd
	v_cndmask_b32_e32 v4, v28, v4, vcc_lo
	v_cmp_eq_u32_e32 vcc_lo, 0x40f, v45
	global_store_b32 v[22:23], v2, off
	v_mul_f16_e32 v2, v84, v5
	v_lshlrev_b32_e32 v5, v52, v97
	v_and_or_b32 v4, 0x8000, v19, v4
	s_wait_alu 0xfffd
	v_cndmask_b32_e32 v18, v30, v18, vcc_lo
	v_cmp_gt_i32_e32 vcc_lo, 31, v48
	v_fma_f16 v1, v65, v1, -v2
	v_lshrrev_b32_e32 v2, 16, v25
	v_and_b32_e32 v4, 0xffff, v4
	v_and_or_b32 v18, 0x8000, v21, v18
	s_wait_alu 0xfffd
	v_cndmask_b32_e32 v17, 0x7c00, v34, vcc_lo
	s_or_b32 vcc_lo, s6, s5
	v_cvt_f32_f16_e32 v1, v1
	s_wait_alu 0xfffe
	v_add_co_ci_u32_e32 v15, vcc_lo, 0, v43, vcc_lo
	v_cmp_eq_u32_e32 vcc_lo, 0x40f, v48
	v_and_b32_e32 v14, 0xffff, v18
	s_wait_alu 0xfffd
	v_dual_cndmask_b32 v16, v17, v20 :: v_dual_add_nc_u32 v19, 0xfffffc10, v51
	v_cmp_ne_u32_e32 vcc_lo, 0, v6
	v_lshl_or_b32 v17, v12, 16, v4
	v_and_or_b32 v6, 0x1ff, v9, v8
	v_lshrrev_b32_e32 v12, 8, v9
	v_lshl_or_b32 v18, v13, 16, v14
	s_wait_alu 0xfffd
	v_cndmask_b32_e64 v4, 0, 1, vcc_lo
	v_cmp_gt_i32_e32 vcc_lo, 31, v37
	v_lshl_or_b32 v21, v19, 12, v10
	global_store_b32 v[26:27], v17, off
	v_lshl_or_b32 v14, v4, 9, 0x7c00
	s_wait_alu 0xfffd
	v_cndmask_b32_e32 v8, 0x7c00, v15, vcc_lo
	v_cmp_ne_u32_e32 vcc_lo, 0, v6
	v_bfe_u32 v15, v9, 20, 11
	s_wait_alu 0xfffd
	v_cndmask_b32_e64 v6, 0, 1, vcc_lo
	v_cmp_ne_u32_e32 vcc_lo, v5, v92
	v_cvt_f64_f32_e32 v[4:5], v1
	v_sub_nc_u32_e32 v1, 0x3f1, v15
	s_delay_alu instid0(VALU_DEP_4)
	v_and_or_b32 v20, 0xffe, v12, v6
	s_wait_alu 0xfffd
	v_cndmask_b32_e64 v13, 0, 1, vcc_lo
	v_cmp_eq_u32_e32 vcc_lo, 0x40f, v37
	v_and_or_b32 v6, 0x8000, v2, v16
	v_med3_i32 v23, v1, 0, 13
	v_or_b32_e32 v22, 0x1000, v20
	v_or_b32_e32 v16, v97, v13
	s_wait_alu 0xfffd
	v_cndmask_b32_e32 v8, v8, v14, vcc_lo
	ds_load_2addr_b32 v[1:2], v83 offset0:14 offset1:149
	v_cmp_gt_i32_e32 vcc_lo, 1, v19
	v_mul_f64_e32 v[12:13], s[22:23], v[35:36]
	v_and_b32_e32 v17, 0xffff, v6
	v_and_or_b32 v8, 0x8000, v7, v8
	s_wait_alu 0xfffd
	v_cndmask_b32_e32 v14, v21, v16, vcc_lo
	v_lshrrev_b32_e32 v16, v23, v22
	v_add_co_u32 v6, vcc_lo, v26, s18
	s_wait_alu 0xfffd
	v_add_co_ci_u32_e32 v7, vcc_lo, s19, v27, vcc_lo
	s_delay_alu instid0(VALU_DEP_3)
	v_lshlrev_b32_e32 v23, v23, v16
	v_and_b32_e32 v21, 7, v14
	v_lshrrev_b32_e32 v14, 2, v14
	v_lshl_or_b32 v17, v8, 16, v17
	global_store_b32 v[6:7], v18, off
	v_cmp_ne_u32_e64 s1, v23, v22
	v_cmp_lt_i32_e32 vcc_lo, 5, v21
	v_cmp_eq_u32_e64 s0, 3, v21
	v_add_nc_u32_e32 v21, 0xfffffc10, v15
	s_wait_dscnt 0x0
	v_lshrrev_b32_e32 v22, 16, v1
	s_wait_alu 0xf1ff
	v_cndmask_b32_e64 v8, 0, 1, s1
	v_lshrrev_b32_e32 v18, 16, v3
	s_or_b32 vcc_lo, s0, vcc_lo
	v_lshl_or_b32 v15, v21, 12, v20
	s_wait_alu 0xfffe
	v_add_co_ci_u32_e32 v14, vcc_lo, 0, v14, vcc_lo
	v_or_b32_e32 v8, v16, v8
	v_mul_f16_e32 v16, v82, v22
	v_cmp_gt_i32_e32 vcc_lo, 1, v21
	v_mul_f64_e32 v[4:5], s[22:23], v[4:5]
	s_delay_alu instid0(VALU_DEP_3)
	v_fmac_f16_e32 v16, v64, v1
	s_wait_alu 0xfffd
	v_cndmask_b32_e32 v8, v15, v8, vcc_lo
	v_cmp_ne_u32_e32 vcc_lo, 0, v10
	v_mul_f16_e32 v1, v82, v1
	v_cvt_f32_f16_e32 v15, v16
	v_and_or_b32 v12, 0x1ff, v13, v12
	s_wait_alu 0xfffd
	v_cndmask_b32_e64 v10, 0, 1, vcc_lo
	v_cmp_gt_i32_e32 vcc_lo, 31, v19
	v_and_b32_e32 v16, 7, v8
	v_lshrrev_b32_e32 v8, 2, v8
	v_cmp_ne_u32_e64 s1, 0, v12
	v_lshl_or_b32 v10, v10, 9, 0x7c00
	s_wait_alu 0xfffd
	v_cndmask_b32_e32 v23, 0x7c00, v14, vcc_lo
	v_cvt_f64_f32_e32 v[14:15], v15
	v_cmp_lt_i32_e32 vcc_lo, 5, v16
	v_cmp_eq_u32_e64 s0, 3, v16
	s_wait_alu 0xf1ff
	v_cndmask_b32_e64 v12, 0, 1, s1
	v_lshrrev_b32_e32 v16, 8, v13
	v_bfe_u32 v24, v13, 20, 11
	v_cmp_eq_u32_e64 s1, 0x40f, v19
	s_or_b32 vcc_lo, s0, vcc_lo
	v_fma_f16 v1, v64, v22, -v1
	s_wait_alu 0xfffe
	v_add_co_ci_u32_e32 v8, vcc_lo, 0, v8, vcc_lo
	v_cndmask_b32_e64 v19, v23, v10, s1
	v_and_or_b32 v12, 0xffe, v16, v12
	v_sub_nc_u32_e32 v10, 0x3f1, v24
	v_cmp_ne_u32_e32 vcc_lo, 0, v20
	v_cvt_f32_f16_e32 v1, v1
	v_lshrrev_b32_e32 v23, 16, v11
	v_or_b32_e32 v16, 0x1000, v12
	v_med3_i32 v22, v10, 0, 13
	s_wait_alu 0xfffd
	v_cndmask_b32_e64 v20, 0, 1, vcc_lo
	v_cmp_gt_i32_e32 vcc_lo, 31, v21
	v_cvt_f64_f32_e32 v[10:11], v1
	v_and_or_b32 v4, 0x1ff, v5, v4
	v_lshrrev_b32_e32 v25, v22, v16
	v_lshl_or_b32 v1, v20, 9, 0x7c00
	s_wait_alu 0xfffd
	v_cndmask_b32_e32 v8, 0x7c00, v8, vcc_lo
	v_cmp_eq_u32_e32 vcc_lo, 0x40f, v21
	v_bfe_u32 v21, v5, 20, 11
	v_lshlrev_b32_e32 v20, v22, v25
	v_lshrrev_b32_e32 v22, 16, v9
	v_and_or_b32 v19, 0x8000, v23, v19
	s_wait_alu 0xfffd
	v_cndmask_b32_e32 v1, v8, v1, vcc_lo
	v_cmp_ne_u32_e32 vcc_lo, 0, v4
	v_lshrrev_b32_e32 v8, 8, v5
	v_lshrrev_b32_e32 v13, 16, v13
	v_and_b32_e32 v19, 0xffff, v19
	v_and_or_b32 v1, 0x8000, v22, v1
	s_wait_alu 0xfffd
	v_cndmask_b32_e64 v4, 0, 1, vcc_lo
	v_mul_f64_e32 v[14:15], s[22:23], v[14:15]
	v_cmp_ne_u32_e32 vcc_lo, v20, v16
	v_add_nc_u32_e32 v20, 0xfffffc10, v24
	v_lshl_or_b32 v1, v1, 16, v19
	v_and_or_b32 v4, 0xffe, v8, v4
	v_sub_nc_u32_e32 v8, 0x3f1, v21
	s_wait_alu 0xfffd
	v_cndmask_b32_e64 v16, 0, 1, vcc_lo
	v_lshl_or_b32 v23, v20, 12, v12
	v_add_nc_u32_e32 v21, 0xfffffc10, v21
	v_or_b32_e32 v24, 0x1000, v4
	v_lshrrev_b32_e32 v5, 16, v5
	v_or_b32_e32 v16, v25, v16
	v_med3_i32 v25, v8, 0, 13
	v_add_co_u32 v8, vcc_lo, v6, s2
	s_wait_alu 0xfffd
	v_add_co_ci_u32_e32 v9, vcc_lo, s3, v7, vcc_lo
	s_delay_alu instid0(VALU_DEP_3)
	v_lshrrev_b32_e32 v22, v25, v24
	v_cmp_gt_i32_e32 vcc_lo, 1, v20
	v_cmp_gt_i32_e64 s1, 1, v21
	global_store_b32 v[8:9], v17, off
	v_mul_f64_e32 v[6:7], s[22:23], v[10:11]
	s_wait_alu 0xfffd
	v_dual_cndmask_b32 v16, v23, v16 :: v_dual_lshlrev_b32 v17, v25, v22
	v_mul_f16_e32 v23, v81, v18
	v_lshl_or_b32 v11, v21, 12, v4
	s_delay_alu instid0(VALU_DEP_3) | instskip(NEXT) | instid1(VALU_DEP_4)
	v_cmp_ne_u32_e32 vcc_lo, v17, v24
	v_and_b32_e32 v19, 7, v16
	v_lshrrev_b32_e32 v16, 2, v16
	v_fmac_f16_e32 v23, v63, v3
	v_mul_f16_e32 v3, v81, v3
	s_wait_alu 0xfffd
	v_cndmask_b32_e64 v10, 0, 1, vcc_lo
	v_add_co_u32 v8, vcc_lo, v8, s18
	s_wait_alu 0xfffd
	v_add_co_ci_u32_e32 v9, vcc_lo, s19, v9, vcc_lo
	v_cmp_lt_i32_e32 vcc_lo, 5, v19
	v_cmp_eq_u32_e64 s0, 3, v19
	v_and_or_b32 v14, 0x1ff, v15, v14
	v_or_b32_e32 v10, v22, v10
	v_cvt_f32_f16_e32 v17, v23
	v_lshrrev_b32_e32 v22, 8, v15
	s_or_b32 vcc_lo, s0, vcc_lo
	v_bfe_u32 v23, v15, 20, 11
	s_wait_alu 0xfffe
	v_add_co_ci_u32_e32 v16, vcc_lo, 0, v16, vcc_lo
	v_cmp_ne_u32_e32 vcc_lo, 0, v14
	v_cndmask_b32_e64 v19, v11, v10, s1
	v_cvt_f64_f32_e32 v[10:11], v17
	v_fma_f16 v3, v63, v18, -v3
	global_store_b32 v[8:9], v1, off
	s_wait_alu 0xfffd
	v_cndmask_b32_e64 v14, 0, 1, vcc_lo
	v_cmp_gt_i32_e32 vcc_lo, 31, v20
	v_and_b32_e32 v17, 7, v19
	v_cvt_f32_f16_e32 v3, v3
	s_delay_alu instid0(VALU_DEP_4)
	v_and_or_b32 v14, 0xffe, v22, v14
	s_wait_alu 0xfffd
	v_cndmask_b32_e32 v16, 0x7c00, v16, vcc_lo
	v_cmp_ne_u32_e32 vcc_lo, 0, v12
	v_cmp_eq_u32_e64 s0, 3, v17
	v_sub_nc_u32_e32 v22, 0x3f1, v23
	v_and_or_b32 v6, 0x1ff, v7, v6
	v_bfe_u32 v25, v7, 20, 11
	s_wait_alu 0xfffd
	v_cndmask_b32_e64 v12, 0, 1, vcc_lo
	v_cmp_lt_i32_e32 vcc_lo, 5, v17
	v_lshrrev_b32_e32 v17, 2, v19
	v_or_b32_e32 v19, 0x1000, v14
	v_med3_i32 v22, v22, 0, 13
	v_lshl_or_b32 v12, v12, 9, 0x7c00
	s_or_b32 vcc_lo, s0, vcc_lo
	s_wait_alu 0xfffe
	v_add_co_ci_u32_e32 v18, vcc_lo, 0, v17, vcc_lo
	v_cmp_eq_u32_e32 vcc_lo, 0x40f, v20
	v_lshrrev_b32_e32 v24, v22, v19
	v_lshrrev_b32_e32 v20, 8, v7
	;; [unrolled: 1-line block ×3, first 2 shown]
	s_wait_alu 0xfffd
	v_cndmask_b32_e32 v12, v16, v12, vcc_lo
	v_cmp_ne_u32_e32 vcc_lo, 0, v6
	v_cvt_f64_f32_e32 v[16:17], v3
	v_lshlrev_b32_e32 v3, v22, v24
	s_delay_alu instid0(VALU_DEP_4) | instskip(SKIP_4) | instid1(VALU_DEP_3)
	v_and_or_b32 v12, 0x8000, v13, v12
	s_wait_alu 0xfffd
	v_cndmask_b32_e64 v6, 0, 1, vcc_lo
	v_cmp_ne_u32_e32 vcc_lo, 0, v4
	v_mul_f64_e32 v[10:11], s[22:23], v[10:11]
	v_and_or_b32 v20, 0xffe, v20, v6
	s_wait_alu 0xfffd
	v_cndmask_b32_e64 v4, 0, 1, vcc_lo
	v_cmp_ne_u32_e32 vcc_lo, v3, v19
	v_sub_nc_u32_e32 v6, 0x3f1, v25
	v_add_nc_u32_e32 v19, 0xfffffc10, v23
	v_or_b32_e32 v22, 0x1000, v20
	v_lshl_or_b32 v23, v4, 9, 0x7c00
	s_wait_alu 0xfffd
	v_cndmask_b32_e64 v3, 0, 1, vcc_lo
	v_cmp_gt_i32_e32 vcc_lo, 31, v21
	v_med3_i32 v6, v6, 0, 13
	v_lshl_or_b32 v26, v19, 12, v14
	v_cmp_eq_u32_e64 s1, 0x40f, v19
	v_or_b32_e32 v24, v24, v3
	s_wait_alu 0xfffd
	v_cndmask_b32_e32 v18, 0x7c00, v18, vcc_lo
	v_cmp_eq_u32_e32 vcc_lo, 0x40f, v21
	v_lshrrev_b32_e32 v27, v6, v22
	ds_load_2addr_b32 v[3:4], v80 offset0:84 offset1:219
	s_wait_alu 0xfffd
	v_cndmask_b32_e32 v18, v18, v23, vcc_lo
	v_cmp_gt_i32_e32 vcc_lo, 1, v19
	v_lshlrev_b32_e32 v6, v6, v27
	v_and_b32_e32 v23, 0xffff, v12
	s_delay_alu instid0(VALU_DEP_4)
	v_and_or_b32 v18, 0x8000, v5, v18
	s_wait_alu 0xfffd
	v_cndmask_b32_e32 v21, v26, v24, vcc_lo
	v_cmp_ne_u32_e32 vcc_lo, v6, v22
	v_add_nc_u32_e32 v22, 0xfffffc10, v25
	v_lshl_or_b32 v18, v18, 16, v23
	s_delay_alu instid0(VALU_DEP_4)
	v_and_b32_e32 v1, 7, v21
	s_wait_alu 0xfffd
	v_cndmask_b32_e64 v5, 0, 1, vcc_lo
	v_lshl_or_b32 v13, v22, 12, v20
	v_lshrrev_b32_e32 v23, 16, v2
	v_cmp_lt_i32_e32 vcc_lo, 5, v1
	v_cmp_eq_u32_e64 s0, 3, v1
	v_lshrrev_b32_e32 v1, 2, v21
	v_or_b32_e32 v12, v27, v5
	v_mul_f64_e32 v[5:6], s[22:23], v[16:17]
	s_wait_dscnt 0x0
	v_lshrrev_b32_e32 v16, 16, v3
	s_or_b32 vcc_lo, s0, vcc_lo
	v_and_or_b32 v10, 0x1ff, v11, v10
	s_wait_alu 0xfffe
	v_add_co_ci_u32_e32 v1, vcc_lo, 0, v1, vcc_lo
	v_mul_f16_e32 v17, v79, v16
	v_cmp_ne_u32_e32 vcc_lo, 0, v14
	v_bfe_u32 v25, v11, 20, 11
	s_delay_alu instid0(VALU_DEP_3) | instskip(SKIP_4) | instid1(VALU_DEP_3)
	v_fmac_f16_e32 v17, v62, v3
	s_wait_alu 0xfffd
	v_cndmask_b32_e64 v14, 0, 1, vcc_lo
	v_cmp_gt_i32_e32 vcc_lo, 1, v22
	v_mul_f16_e32 v3, v79, v3
	v_lshl_or_b32 v14, v14, 9, 0x7c00
	s_wait_alu 0xfffd
	v_cndmask_b32_e32 v21, v13, v12, vcc_lo
	v_cvt_f32_f16_e32 v12, v17
	v_cmp_gt_i32_e32 vcc_lo, 31, v19
	v_lshrrev_b32_e32 v17, 8, v11
	v_fma_f16 v3, v62, v16, -v3
	v_and_b32_e32 v24, 7, v21
	v_cvt_f64_f32_e32 v[12:13], v12
	s_wait_alu 0xfffd
	v_cndmask_b32_e32 v1, 0x7c00, v1, vcc_lo
	v_cmp_ne_u32_e32 vcc_lo, 0, v10
	v_cvt_f32_f16_e32 v3, v3
	v_cmp_eq_u32_e64 s0, 3, v24
	s_delay_alu instid0(VALU_DEP_4)
	v_cndmask_b32_e64 v1, v1, v14, s1
	s_wait_alu 0xfffd
	v_cndmask_b32_e64 v10, 0, 1, vcc_lo
	v_cmp_lt_i32_e32 vcc_lo, 5, v24
	v_lshrrev_b32_e32 v14, 2, v21
	v_lshrrev_b32_e32 v21, 16, v15
	s_delay_alu instid0(VALU_DEP_4)
	v_and_or_b32 v17, 0xffe, v17, v10
	s_or_b32 vcc_lo, s0, vcc_lo
	v_sub_nc_u32_e32 v10, 0x3f1, v25
	s_wait_alu 0xfffe
	v_add_co_ci_u32_e32 v14, vcc_lo, 0, v14, vcc_lo
	v_cmp_ne_u32_e32 vcc_lo, 0, v20
	v_and_or_b32 v5, 0x1ff, v6, v5
	v_or_b32_e32 v19, 0x1000, v17
	v_med3_i32 v10, v10, 0, 13
	v_lshrrev_b32_e32 v26, 8, v6
	s_wait_alu 0xfffd
	v_cndmask_b32_e64 v20, 0, 1, vcc_lo
	v_cmp_gt_i32_e32 vcc_lo, 31, v22
	v_bfe_u32 v27, v6, 20, 11
	v_lshrrev_b32_e32 v24, v10, v19
	v_and_or_b32 v1, 0x8000, v21, v1
	v_lshl_or_b32 v20, v20, 9, 0x7c00
	s_wait_alu 0xfffd
	v_cndmask_b32_e32 v16, 0x7c00, v14, vcc_lo
	v_cmp_ne_u32_e32 vcc_lo, 0, v5
	v_cvt_f64_f32_e32 v[14:15], v3
	v_lshlrev_b32_e32 v10, v10, v24
	v_and_b32_e32 v1, 0xffff, v1
	s_wait_alu 0xfffd
	v_cndmask_b32_e64 v5, 0, 1, vcc_lo
	v_cmp_eq_u32_e32 vcc_lo, 0x40f, v22
	v_mul_f64_e32 v[12:13], s[22:23], v[12:13]
	s_delay_alu instid0(VALU_DEP_3)
	v_and_or_b32 v5, 0xffe, v26, v5
	s_wait_alu 0xfffd
	v_cndmask_b32_e32 v3, v16, v20, vcc_lo
	v_sub_nc_u32_e32 v16, 0x3f1, v27
	v_cmp_ne_u32_e32 vcc_lo, v10, v19
	v_add_nc_u32_e32 v19, 0xfffffc10, v25
	v_or_b32_e32 v20, 0x1000, v5
	v_and_or_b32 v3, 0x8000, v7, v3
	v_med3_i32 v16, v16, 0, 13
	s_wait_alu 0xfffd
	v_cndmask_b32_e64 v10, 0, 1, vcc_lo
	v_lshl_or_b32 v22, v19, 12, v17
	v_cmp_gt_i32_e32 vcc_lo, 1, v19
	v_lshl_or_b32 v3, v3, 16, v1
	v_lshrrev_b32_e32 v21, v16, v20
	v_or_b32_e32 v10, v24, v10
	v_mul_f16_e32 v1, v78, v23
	s_delay_alu instid0(VALU_DEP_3) | instskip(SKIP_1) | instid1(VALU_DEP_3)
	v_lshlrev_b32_e32 v16, v16, v21
	s_wait_alu 0xfffd
	v_cndmask_b32_e32 v10, v22, v10, vcc_lo
	v_add_co_u32 v7, vcc_lo, v8, s18
	s_wait_alu 0xfffd
	v_add_co_ci_u32_e32 v8, vcc_lo, s19, v9, vcc_lo
	v_cmp_ne_u32_e32 vcc_lo, v16, v20
	v_fmac_f16_e32 v1, v61, v2
	v_and_b32_e32 v22, 7, v10
	v_add_nc_u32_e32 v16, 0xfffffc10, v27
	v_mul_f16_e32 v2, v78, v2
	s_wait_alu 0xfffd
	v_cndmask_b32_e64 v9, 0, 1, vcc_lo
	v_cvt_f32_f16_e32 v1, v1
	v_cmp_lt_i32_e32 vcc_lo, 5, v22
	v_cmp_eq_u32_e64 s0, 3, v22
	v_lshrrev_b32_e32 v22, 2, v10
	v_or_b32_e32 v20, v21, v9
	v_mul_f64_e32 v[9:10], s[22:23], v[14:15]
	v_cvt_f64_f32_e32 v[14:15], v1
	v_lshl_or_b32 v21, v16, 12, v5
	v_cmp_gt_i32_e64 s1, 1, v16
	v_and_or_b32 v12, 0x1ff, v13, v12
	s_or_b32 vcc_lo, s0, vcc_lo
	v_bfe_u32 v24, v13, 20, 11
	v_fma_f16 v2, v61, v23, -v2
	v_cndmask_b32_e64 v20, v21, v20, s1
	s_wait_alu 0xfffe
	v_add_co_ci_u32_e32 v21, vcc_lo, 0, v22, vcc_lo
	v_cmp_ne_u32_e32 vcc_lo, 0, v17
	v_cmp_ne_u32_e64 s0, 0, v12
	v_lshrrev_b32_e32 v22, 8, v13
	v_and_b32_e32 v1, 7, v20
	v_cmp_eq_u32_e64 s1, 0x40f, v19
	s_wait_alu 0xfffd
	v_cndmask_b32_e64 v17, 0, 1, vcc_lo
	v_cmp_gt_i32_e32 vcc_lo, 31, v19
	s_wait_alu 0xf1ff
	v_cndmask_b32_e64 v12, 0, 1, s0
	v_cmp_eq_u32_e64 s0, 3, v1
	v_cvt_f32_f16_e32 v2, v2
	v_lshl_or_b32 v17, v17, 9, 0x7c00
	s_wait_alu 0xfffd
	v_cndmask_b32_e32 v21, 0x7c00, v21, vcc_lo
	v_and_or_b32 v19, 0xffe, v22, v12
	v_sub_nc_u32_e32 v12, 0x3f1, v24
	v_cmp_lt_i32_e32 vcc_lo, 5, v1
	v_lshrrev_b32_e32 v13, 16, v13
	v_cndmask_b32_e64 v1, v21, v17, s1
	v_lshrrev_b32_e32 v17, 2, v20
	v_or_b32_e32 v20, 0x1000, v19
	v_med3_i32 v12, v12, 0, 13
	s_or_b32 vcc_lo, s0, vcc_lo
	v_lshrrev_b32_e32 v21, 16, v11
	s_wait_alu 0xfffe
	v_add_co_ci_u32_e32 v17, vcc_lo, 0, v17, vcc_lo
	v_lshrrev_b32_e32 v22, v12, v20
	v_cmp_ne_u32_e32 vcc_lo, 0, v5
	v_and_or_b32 v21, 0x8000, v21, v1
	v_and_or_b32 v9, 0x1ff, v10, v9
	v_mul_f64_e32 v[14:15], s[22:23], v[14:15]
	v_lshlrev_b32_e32 v23, v12, v22
	v_cvt_f64_f32_e32 v[11:12], v2
	s_wait_alu 0xfffd
	v_cndmask_b32_e64 v5, 0, 1, vcc_lo
	v_cmp_gt_i32_e32 vcc_lo, 31, v16
	ds_load_2addr_b32 v[1:2], v77 offset0:56 offset1:191
	v_and_b32_e32 v21, 0xffff, v21
	v_lshl_or_b32 v5, v5, 9, 0x7c00
	s_wait_alu 0xfffd
	v_cndmask_b32_e32 v17, 0x7c00, v17, vcc_lo
	v_cmp_eq_u32_e32 vcc_lo, 0x40f, v16
	s_wait_alu 0xfffd
	s_delay_alu instid0(VALU_DEP_2)
	v_cndmask_b32_e32 v16, v17, v5, vcc_lo
	v_cmp_ne_u32_e32 vcc_lo, 0, v9
	v_lshrrev_b32_e32 v9, 8, v10
	v_bfe_u32 v17, v10, 20, 11
	v_lshrrev_b32_e32 v10, 16, v10
	s_wait_alu 0xfffd
	v_cndmask_b32_e64 v5, 0, 1, vcc_lo
	v_cmp_ne_u32_e32 vcc_lo, v23, v20
	v_add_nc_u32_e32 v23, 0xfffffc10, v24
	v_lshrrev_b32_e32 v24, 16, v6
	s_delay_alu instid0(VALU_DEP_4)
	v_and_or_b32 v9, 0xffe, v9, v5
	v_sub_nc_u32_e32 v5, 0x3f1, v17
	s_wait_alu 0xfffd
	v_cndmask_b32_e64 v20, 0, 1, vcc_lo
	v_and_or_b32 v16, 0x8000, v24, v16
	v_or_b32_e32 v25, 0x1000, v9
	v_med3_i32 v26, v5, 0, 13
	v_add_co_u32 v5, vcc_lo, v7, s2
	s_wait_alu 0xfffd
	v_add_co_ci_u32_e32 v6, vcc_lo, s3, v8, vcc_lo
	s_delay_alu instid0(VALU_DEP_3)
	v_lshrrev_b32_e32 v24, v26, v25
	v_or_b32_e32 v20, v22, v20
	v_lshl_or_b32 v22, v23, 12, v19
	v_cmp_gt_i32_e32 vcc_lo, 1, v23
	global_store_b32 v[7:8], v18, off
	global_store_b32 v[5:6], v3, off
	v_lshl_or_b32 v3, v16, 16, v21
	v_lshlrev_b32_e32 v16, v26, v24
	s_wait_dscnt 0x0
	v_lshrrev_b32_e32 v21, 16, v1
	v_mul_f64_e32 v[7:8], s[22:23], v[11:12]
	s_wait_alu 0xfffd
	v_cndmask_b32_e32 v20, v22, v20, vcc_lo
	v_and_or_b32 v12, 0x1ff, v15, v14
	v_cmp_ne_u32_e64 s0, v16, v25
	v_mul_f16_e32 v22, v76, v21
	v_add_co_u32 v5, vcc_lo, v5, s18
	v_and_b32_e32 v18, 7, v20
	s_wait_alu 0xf1ff
	v_cndmask_b32_e64 v11, 0, 1, s0
	v_add_nc_u32_e32 v25, 0xfffffc10, v17
	v_fmac_f16_e32 v22, v60, v1
	v_cmp_ne_u32_e64 s1, 0, v12
	s_wait_alu 0xfffd
	v_add_co_ci_u32_e32 v6, vcc_lo, s19, v6, vcc_lo
	v_cmp_lt_i32_e32 vcc_lo, 5, v18
	v_cmp_eq_u32_e64 s0, 3, v18
	v_lshrrev_b32_e32 v14, 2, v20
	v_or_b32_e32 v16, v24, v11
	v_cvt_f32_f16_e32 v11, v22
	v_lshl_or_b32 v17, v25, 12, v9
	s_wait_alu 0xf1ff
	v_cndmask_b32_e64 v18, 0, 1, s1
	v_cmp_gt_i32_e64 s1, 1, v25
	s_or_b32 vcc_lo, s0, vcc_lo
	v_lshrrev_b32_e32 v20, 8, v15
	s_wait_alu 0xfffe
	v_add_co_ci_u32_e32 v14, vcc_lo, 0, v14, vcc_lo
	v_cvt_f64_f32_e32 v[11:12], v11
	v_cndmask_b32_e64 v16, v17, v16, s1
	v_cmp_ne_u32_e32 vcc_lo, 0, v19
	v_bfe_u32 v22, v15, 20, 11
	v_and_or_b32 v18, 0xffe, v20, v18
	v_mul_f16_e32 v1, v76, v1
	v_and_b32_e32 v20, 7, v16
	s_wait_alu 0xfffd
	v_cndmask_b32_e64 v19, 0, 1, vcc_lo
	v_cmp_gt_i32_e32 vcc_lo, 31, v23
	v_sub_nc_u32_e32 v17, 0x3f1, v22
	v_lshrrev_b32_e32 v16, 2, v16
	v_cmp_eq_u32_e64 s0, 3, v20
	v_or_b32_e32 v24, 0x1000, v18
	s_wait_alu 0xfffd
	v_cndmask_b32_e32 v14, 0x7c00, v14, vcc_lo
	v_cmp_lt_i32_e32 vcc_lo, 5, v20
	v_med3_i32 v17, v17, 0, 13
	v_fma_f16 v1, v60, v21, -v1
	v_and_or_b32 v7, 0x1ff, v8, v7
	v_bfe_u32 v27, v8, 20, 11
	s_or_b32 vcc_lo, s0, vcc_lo
	v_lshrrev_b32_e32 v20, v17, v24
	s_wait_alu 0xfffe
	v_add_co_ci_u32_e32 v16, vcc_lo, 0, v16, vcc_lo
	v_cmp_gt_i32_e32 vcc_lo, 31, v25
	v_cvt_f32_f16_e32 v1, v1
	v_lshlrev_b32_e32 v21, v17, v20
	v_lshl_or_b32 v19, v19, 9, 0x7c00
	v_add_nc_u32_e32 v22, 0xfffffc10, v22
	s_wait_alu 0xfffd
	v_cndmask_b32_e32 v26, 0x7c00, v16, vcc_lo
	v_cmp_ne_u32_e32 vcc_lo, 0, v7
	v_cvt_f64_f32_e32 v[16:17], v1
	v_lshrrev_b32_e32 v7, 8, v8
	global_store_b32 v[5:6], v3, off
	v_lshrrev_b32_e32 v15, 16, v15
	s_wait_alu 0xfffd
	v_cndmask_b32_e64 v1, 0, 1, vcc_lo
	v_cmp_ne_u32_e32 vcc_lo, v21, v24
	v_lshl_or_b32 v24, v22, 12, v18
	v_lshrrev_b32_e32 v8, 16, v8
	v_mul_f64_e32 v[11:12], s[22:23], v[11:12]
	v_and_or_b32 v1, 0xffe, v7, v1
	s_wait_alu 0xfffd
	v_cndmask_b32_e64 v21, 0, 1, vcc_lo
	v_cmp_ne_u32_e32 vcc_lo, 0, v9
	v_sub_nc_u32_e32 v7, 0x3f1, v27
	s_delay_alu instid0(VALU_DEP_3)
	v_or_b32_e32 v20, v20, v21
	s_wait_alu 0xfffd
	v_cndmask_b32_e64 v9, 0, 1, vcc_lo
	v_cmp_eq_u32_e32 vcc_lo, 0x40f, v23
	v_or_b32_e32 v21, 0x1000, v1
	v_med3_i32 v7, v7, 0, 13
	s_delay_alu instid0(VALU_DEP_4) | instskip(SKIP_4) | instid1(VALU_DEP_3)
	v_lshl_or_b32 v9, v9, 9, 0x7c00
	s_wait_alu 0xfffd
	v_cndmask_b32_e32 v14, v14, v19, vcc_lo
	v_cmp_gt_i32_e32 vcc_lo, 1, v22
	v_lshrrev_b32_e32 v19, v7, v21
	v_and_or_b32 v13, 0x8000, v13, v14
	s_wait_alu 0xfffd
	v_cndmask_b32_e32 v20, v24, v20, vcc_lo
	v_cmp_eq_u32_e32 vcc_lo, 0x40f, v25
	v_lshlrev_b32_e32 v7, v7, v19
	s_delay_alu instid0(VALU_DEP_3)
	v_and_b32_e32 v23, 7, v20
	s_wait_alu 0xfffd
	v_cndmask_b32_e32 v9, v26, v9, vcc_lo
	v_lshrrev_b32_e32 v3, 2, v20
	v_cmp_ne_u32_e64 s1, v7, v21
	v_add_nc_u32_e32 v20, 0xfffffc10, v27
	v_cmp_lt_i32_e32 vcc_lo, 5, v23
	v_cmp_eq_u32_e64 s0, 3, v23
	v_and_or_b32 v24, 0x8000, v10, v9
	s_wait_alu 0xf1ff
	v_cndmask_b32_e64 v7, 0, 1, s1
	v_mul_f64_e32 v[9:10], s[22:23], v[16:17]
	v_and_b32_e32 v23, 0xffff, v13
	s_or_b32 vcc_lo, s0, vcc_lo
	v_lshrrev_b32_e32 v16, 16, v4
	s_wait_alu 0xfffe
	v_add_co_ci_u32_e32 v3, vcc_lo, 0, v3, vcc_lo
	v_cmp_ne_u32_e32 vcc_lo, 0, v18
	v_or_b32_e32 v7, v19, v7
	v_lshl_or_b32 v13, v20, 12, v1
	v_and_or_b32 v11, 0x1ff, v12, v11
	v_mul_f16_e32 v17, v75, v16
	s_wait_alu 0xfffd
	v_cndmask_b32_e64 v14, 0, 1, vcc_lo
	v_cmp_gt_i32_e32 vcc_lo, 1, v20
	v_cmp_eq_u32_e64 s1, 0x40f, v22
	v_bfe_u32 v19, v12, 20, 11
	v_fmac_f16_e32 v17, v59, v4
	v_lshl_or_b32 v18, v14, 9, 0x7c00
	s_wait_alu 0xfffd
	v_cndmask_b32_e32 v7, v13, v7, vcc_lo
	v_cmp_gt_i32_e32 vcc_lo, 31, v22
	v_lshrrev_b32_e32 v14, 8, v12
	v_cvt_f32_f16_e32 v17, v17
	v_mul_f16_e32 v4, v75, v4
	v_and_b32_e32 v13, 7, v7
	s_wait_alu 0xfffd
	v_cndmask_b32_e32 v3, 0x7c00, v3, vcc_lo
	v_cmp_ne_u32_e32 vcc_lo, 0, v11
	v_lshrrev_b32_e32 v12, 16, v12
	v_fma_f16 v4, v59, v16, -v4
	v_cmp_eq_u32_e64 s0, 3, v13
	s_wait_alu 0xf1ff
	v_cndmask_b32_e64 v18, v3, v18, s1
	s_wait_alu 0xfffd
	v_cndmask_b32_e64 v11, 0, 1, vcc_lo
	v_cmp_lt_i32_e32 vcc_lo, 5, v13
	v_lshrrev_b32_e32 v3, 2, v7
	v_and_or_b32 v15, 0x8000, v15, v18
	s_delay_alu instid0(VALU_DEP_4)
	v_and_or_b32 v11, 0xffe, v14, v11
	v_cvt_f64_f32_e32 v[13:14], v17
	s_or_b32 vcc_lo, s0, vcc_lo
	v_sub_nc_u32_e32 v17, 0x3f1, v19
	s_wait_alu 0xfffe
	v_add_co_ci_u32_e32 v3, vcc_lo, 0, v3, vcc_lo
	v_cmp_ne_u32_e32 vcc_lo, 0, v1
	v_or_b32_e32 v7, 0x1000, v11
	v_med3_i32 v17, v17, 0, 13
	v_and_or_b32 v9, 0x1ff, v10, v9
	v_lshrrev_b32_e32 v22, 8, v10
	s_wait_alu 0xfffd
	v_cndmask_b32_e64 v1, 0, 1, vcc_lo
	v_cmp_gt_i32_e32 vcc_lo, 31, v20
	v_lshrrev_b32_e32 v21, v17, v7
	v_bfe_u32 v25, v10, 20, 11
	v_lshrrev_b32_e32 v10, 16, v10
	v_lshl_or_b32 v1, v1, 9, 0x7c00
	s_wait_alu 0xfffd
	v_cndmask_b32_e32 v16, 0x7c00, v3, vcc_lo
	v_cvt_f32_f16_e32 v3, v4
	v_lshlrev_b32_e32 v17, v17, v21
	v_cmp_ne_u32_e32 vcc_lo, 0, v9
	s_delay_alu instid0(VALU_DEP_3)
	v_cvt_f64_f32_e32 v[3:4], v3
	s_wait_alu 0xfffd
	v_cndmask_b32_e64 v9, 0, 1, vcc_lo
	v_cmp_ne_u32_e32 vcc_lo, v17, v7
	v_add_nc_u32_e32 v17, 0xfffffc10, v19
	v_sub_nc_u32_e32 v19, 0x3f1, v25
	s_delay_alu instid0(VALU_DEP_4)
	v_and_or_b32 v9, 0xffe, v22, v9
	s_wait_alu 0xfffd
	v_cndmask_b32_e64 v7, 0, 1, vcc_lo
	v_cmp_eq_u32_e32 vcc_lo, 0x40f, v20
	v_med3_i32 v19, v19, 0, 13
	v_lshl_or_b32 v20, v17, 12, v11
	v_cmp_eq_u32_e64 s1, 0x40f, v17
	v_or_b32_e32 v7, v21, v7
	s_wait_alu 0xfffd
	v_cndmask_b32_e32 v1, v16, v1, vcc_lo
	v_or_b32_e32 v16, 0x1000, v9
	v_mul_f64_e32 v[13:14], s[22:23], v[13:14]
	v_cmp_gt_i32_e32 vcc_lo, 1, v17
	v_and_b32_e32 v21, 0xffff, v15
	v_and_or_b32 v1, 0x8000, v8, v1
	v_lshrrev_b32_e32 v18, v19, v16
	s_wait_alu 0xfffd
	v_cndmask_b32_e32 v7, v20, v7, vcc_lo
	v_add_co_u32 v5, vcc_lo, v5, s18
	s_delay_alu instid0(VALU_DEP_3) | instskip(SKIP_1) | instid1(VALU_DEP_4)
	v_lshlrev_b32_e32 v8, v19, v18
	v_lshrrev_b32_e32 v19, 16, v0
	v_and_b32_e32 v15, 7, v7
	s_wait_alu 0xfffd
	v_add_co_ci_u32_e32 v6, vcc_lo, s19, v6, vcc_lo
	v_cmp_ne_u32_e64 s0, v8, v16
	v_mul_f16_e32 v22, v74, v19
	v_cmp_lt_i32_e32 vcc_lo, 5, v15
	v_lshl_or_b32 v20, v24, 16, v23
	v_add_nc_u32_e32 v23, 0xfffffc10, v25
	s_wait_alu 0xf1ff
	v_cndmask_b32_e64 v8, 0, 1, s0
	v_fmac_f16_e32 v22, v58, v0
	v_cmp_eq_u32_e64 s0, 3, v15
	v_lshrrev_b32_e32 v15, 2, v7
	v_lshl_or_b32 v24, v23, 12, v9
	v_or_b32_e32 v18, v18, v8
	v_mul_f64_e32 v[7:8], s[22:23], v[3:4]
	v_cvt_f32_f16_e32 v3, v22
	s_or_b32 vcc_lo, s0, vcc_lo
	v_lshl_or_b32 v1, v1, 16, v21
	s_wait_alu 0xfffe
	v_add_co_ci_u32_e32 v4, vcc_lo, 0, v15, vcc_lo
	v_cvt_f64_f32_e32 v[15:16], v3
	v_cmp_ne_u32_e32 vcc_lo, 0, v11
	v_mul_f16_e32 v0, v74, v0
	global_store_b32 v[5:6], v20, off
	s_wait_alu 0xfffd
	v_cndmask_b32_e64 v11, 0, 1, vcc_lo
	v_cmp_gt_i32_e32 vcc_lo, 1, v23
	v_and_or_b32 v13, 0x1ff, v14, v13
	v_bfe_u32 v25, v14, 20, 11
	v_fma_f16 v0, v58, v19, -v0
	v_lshl_or_b32 v11, v11, 9, 0x7c00
	s_wait_alu 0xfffd
	v_cndmask_b32_e32 v18, v24, v18, vcc_lo
	v_cmp_gt_i32_e32 vcc_lo, 31, v17
	v_cmp_ne_u32_e64 s0, 0, v13
	v_lshrrev_b32_e32 v24, 8, v14
	v_cvt_f32_f16_e32 v0, v0
	s_wait_alu 0xfffd
	v_dual_cndmask_b32 v21, 0x7c00, v4 :: v_dual_and_b32 v22, 7, v18
	v_add_co_u32 v3, vcc_lo, v5, s2
	s_wait_alu 0xfffd
	v_add_co_ci_u32_e32 v4, vcc_lo, s3, v6, vcc_lo
	s_delay_alu instid0(VALU_DEP_3)
	v_cmp_lt_i32_e32 vcc_lo, 5, v22
	s_wait_alu 0xf1ff
	v_cndmask_b32_e64 v13, 0, 1, s0
	v_cmp_eq_u32_e64 s0, 3, v22
	v_lshrrev_b32_e32 v17, 2, v18
	v_sub_nc_u32_e32 v18, 0x3f1, v25
	v_cndmask_b32_e64 v11, v21, v11, s1
	v_and_or_b32 v13, 0xffe, v24, v13
	s_or_b32 vcc_lo, s0, vcc_lo
	global_store_b32 v[3:4], v1, off
	s_wait_alu 0xfffe
	v_add_co_ci_u32_e32 v17, vcc_lo, 0, v17, vcc_lo
	v_cmp_ne_u32_e32 vcc_lo, 0, v9
	v_or_b32_e32 v21, 0x1000, v13
	v_med3_i32 v18, v18, 0, 13
	v_and_or_b32 v7, 0x1ff, v8, v7
	v_and_or_b32 v24, 0x8000, v12, v11
	s_wait_alu 0xfffd
	v_cndmask_b32_e64 v9, 0, 1, vcc_lo
	v_cmp_gt_i32_e32 vcc_lo, 31, v23
	v_mul_f64_e32 v[11:12], s[22:23], v[15:16]
	v_lshrrev_b32_e32 v22, v18, v21
	v_lshrrev_b32_e32 v15, 8, v8
	v_lshl_or_b32 v9, v9, 9, 0x7c00
	s_wait_alu 0xfffd
	v_cndmask_b32_e32 v17, 0x7c00, v17, vcc_lo
	v_cmp_ne_u32_e32 vcc_lo, 0, v7
	v_lshlrev_b32_e32 v18, v18, v22
	v_bfe_u32 v19, v8, 20, 11
	v_lshrrev_b32_e32 v8, 16, v8
	s_wait_alu 0xfffd
	v_cndmask_b32_e64 v7, 0, 1, vcc_lo
	v_cmp_eq_u32_e32 vcc_lo, 0x40f, v23
	v_lshrrev_b32_e32 v23, 16, v2
	s_delay_alu instid0(VALU_DEP_3)
	v_and_or_b32 v7, 0xffe, v15, v7
	s_wait_alu 0xfffd
	v_cndmask_b32_e32 v9, v17, v9, vcc_lo
	v_cmp_ne_u32_e32 vcc_lo, v18, v21
	v_cvt_f64_f32_e32 v[15:16], v0
	v_add_nc_u32_e32 v17, 0xfffffc10, v25
	v_sub_nc_u32_e32 v18, 0x3f1, v19
	v_or_b32_e32 v21, 0x1000, v7
	s_wait_alu 0xfffd
	v_cndmask_b32_e64 v0, 0, 1, vcc_lo
	v_and_or_b32 v9, 0x8000, v10, v9
	v_cmp_gt_i32_e32 vcc_lo, 1, v17
	v_med3_i32 v18, v18, 0, 13
	s_delay_alu instid0(VALU_DEP_4) | instskip(SKIP_1) | instid1(VALU_DEP_3)
	v_or_b32_e32 v0, v22, v0
	v_lshl_or_b32 v22, v17, 12, v13
	v_lshrrev_b32_e32 v25, v18, v21
	s_wait_alu 0xfffd
	s_delay_alu instid0(VALU_DEP_2) | instskip(SKIP_1) | instid1(VALU_DEP_3)
	v_cndmask_b32_e32 v10, v22, v0, vcc_lo
	v_mul_f16_e32 v22, v73, v23
	v_lshlrev_b32_e32 v5, v18, v25
	v_and_b32_e32 v0, 0xffff, v24
	v_add_nc_u32_e32 v18, 0xfffffc10, v19
	v_and_or_b32 v11, 0x1ff, v12, v11
	v_fmac_f16_e32 v22, v57, v2
	v_cmp_ne_u32_e64 s0, v5, v21
	v_and_b32_e32 v20, 7, v10
	v_lshl_or_b32 v0, v9, 16, v0
	v_cmp_ne_u32_e64 s1, 0, v11
	v_cvt_f32_f16_e32 v1, v22
	s_wait_alu 0xf1ff
	v_cndmask_b32_e64 v9, 0, 1, s0
	v_cmp_lt_i32_e32 vcc_lo, 5, v20
	v_cmp_eq_u32_e64 s0, 3, v20
	v_lshl_or_b32 v20, v18, 12, v7
	v_cvt_f64_f32_e32 v[5:6], v1
	v_or_b32_e32 v19, v25, v9
	v_cndmask_b32_e64 v11, 0, 1, s1
	v_cmp_gt_i32_e64 s1, 1, v18
	v_lshrrev_b32_e32 v1, 2, v10
	s_or_b32 vcc_lo, s0, vcc_lo
	v_lshrrev_b32_e32 v21, 8, v12
	v_mul_f64_e32 v[9:10], s[22:23], v[15:16]
	v_cndmask_b32_e64 v15, v20, v19, s1
	v_bfe_u32 v22, v12, 20, 11
	s_wait_alu 0xfffe
	v_add_co_ci_u32_e32 v1, vcc_lo, 0, v1, vcc_lo
	v_cmp_ne_u32_e32 vcc_lo, 0, v13
	v_and_b32_e32 v19, 7, v15
	v_and_or_b32 v11, 0xffe, v21, v11
	v_sub_nc_u32_e32 v16, 0x3f1, v22
	v_lshrrev_b32_e32 v15, 2, v15
	s_wait_alu 0xfffd
	v_cndmask_b32_e64 v13, 0, 1, vcc_lo
	v_cmp_lt_i32_e32 vcc_lo, 5, v19
	v_cmp_eq_u32_e64 s0, 3, v19
	v_or_b32_e32 v20, 0x1000, v11
	v_med3_i32 v16, v16, 0, 13
	v_cmp_gt_i32_e64 s1, 31, v17
	v_lshl_or_b32 v13, v13, 9, 0x7c00
	s_or_b32 vcc_lo, s0, vcc_lo
	v_mul_f16_e32 v2, v73, v2
	s_wait_alu 0xfffe
	v_add_co_ci_u32_e32 v15, vcc_lo, 0, v15, vcc_lo
	v_lshrrev_b32_e32 v19, v16, v20
	v_cndmask_b32_e64 v1, 0x7c00, v1, s1
	v_cmp_eq_u32_e32 vcc_lo, 0x40f, v17
	v_add_nc_u32_e32 v17, 0xfffffc10, v22
	v_fma_f16 v2, v57, v23, -v2
	s_wait_alu 0xfffd
	v_dual_cndmask_b32 v1, v1, v13 :: v_dual_lshlrev_b32 v16, v16, v19
	v_cmp_ne_u32_e32 vcc_lo, 0, v7
	v_lshrrev_b32_e32 v13, 16, v14
	v_mul_f64_e32 v[5:6], s[22:23], v[5:6]
	ds_load_b32 v14, v55 offset:7560
	s_wait_alu 0xfffd
	v_cndmask_b32_e64 v7, 0, 1, vcc_lo
	v_cmp_ne_u32_e32 vcc_lo, v16, v20
	v_and_or_b32 v20, 0x8000, v13, v1
	v_cvt_f32_f16_e32 v1, v2
	v_and_or_b32 v9, 0x1ff, v10, v9
	v_lshl_or_b32 v7, v7, 9, 0x7c00
	s_wait_alu 0xfffd
	v_cndmask_b32_e64 v16, 0, 1, vcc_lo
	v_cmp_gt_i32_e32 vcc_lo, 31, v18
	v_cvt_f64_f32_e32 v[1:2], v1
	v_and_b32_e32 v20, 0xffff, v20
	s_delay_alu instid0(VALU_DEP_4)
	v_or_b32_e32 v16, v19, v16
	s_wait_alu 0xfffd
	v_cndmask_b32_e32 v15, 0x7c00, v15, vcc_lo
	v_lshl_or_b32 v19, v17, 12, v11
	v_cmp_gt_i32_e32 vcc_lo, 1, v17
	s_wait_dscnt 0x0
	v_lshrrev_b32_e32 v21, 16, v14
	s_wait_alu 0xfffd
	v_cndmask_b32_e32 v13, v19, v16, vcc_lo
	v_cmp_ne_u32_e32 vcc_lo, 0, v9
	v_lshrrev_b32_e32 v16, 8, v10
	v_bfe_u32 v19, v10, 20, 11
	v_lshrrev_b32_e32 v10, 16, v10
	s_wait_alu 0xfffd
	v_cndmask_b32_e64 v9, 0, 1, vcc_lo
	v_cmp_eq_u32_e32 vcc_lo, 0x40f, v18
	v_mul_f16_e32 v18, v72, v21
	s_delay_alu instid0(VALU_DEP_3)
	v_and_or_b32 v9, 0xffe, v16, v9
	s_wait_alu 0xfffd
	v_cndmask_b32_e32 v7, v15, v7, vcc_lo
	v_and_b32_e32 v15, 7, v13
	v_sub_nc_u32_e32 v16, 0x3f1, v19
	v_fmac_f16_e32 v18, v56, v14
	v_or_b32_e32 v22, 0x1000, v9
	v_and_or_b32 v5, 0x1ff, v6, v5
	v_cmp_lt_i32_e32 vcc_lo, 5, v15
	v_cmp_eq_u32_e64 s0, 3, v15
	v_and_or_b32 v15, 0x8000, v8, v7
	v_lshrrev_b32_e32 v7, 2, v13
	v_med3_i32 v16, v16, 0, 13
	v_cvt_f32_f16_e32 v8, v18
	s_or_b32 vcc_lo, s0, vcc_lo
	v_mul_f16_e32 v14, v72, v14
	s_wait_alu 0xfffe
	v_add_co_ci_u32_e32 v18, vcc_lo, 0, v7, vcc_lo
	v_lshrrev_b32_e32 v13, v16, v22
	v_cmp_ne_u32_e32 vcc_lo, 0, v11
	v_cvt_f64_f32_e32 v[7:8], v8
	v_fma_f16 v14, v56, v21, -v14
	v_lshrrev_b32_e32 v23, 8, v6
	v_lshlrev_b32_e32 v16, v16, v13
	s_wait_alu 0xfffd
	v_cndmask_b32_e64 v11, 0, 1, vcc_lo
	v_cmp_ne_u32_e32 vcc_lo, 0, v5
	v_cvt_f32_f16_e32 v14, v14
	v_add_nc_u32_e32 v19, 0xfffffc10, v19
	v_bfe_u32 v21, v6, 20, 11
	v_mul_f64_e32 v[1:2], s[22:23], v[1:2]
	s_wait_alu 0xfffd
	v_cndmask_b32_e64 v5, 0, 1, vcc_lo
	v_cmp_ne_u32_e32 vcc_lo, v16, v22
	v_lshl_or_b32 v11, v11, 9, 0x7c00
	v_sub_nc_u32_e32 v22, 0x3f1, v21
	v_lshl_or_b32 v15, v15, 16, v20
	v_and_or_b32 v5, 0xffe, v23, v5
	s_wait_alu 0xfffd
	v_cndmask_b32_e64 v16, 0, 1, vcc_lo
	v_cmp_gt_i32_e32 vcc_lo, 31, v17
	v_lshl_or_b32 v23, v19, 12, v9
	v_med3_i32 v22, v22, 0, 13
	v_or_b32_e32 v24, 0x1000, v5
	v_or_b32_e32 v16, v13, v16
	v_cvt_f64_f32_e32 v[13:14], v14
	s_wait_alu 0xfffd
	v_cndmask_b32_e32 v18, 0x7c00, v18, vcc_lo
	v_cmp_gt_i32_e32 vcc_lo, 1, v19
	v_lshrrev_b32_e32 v25, v22, v24
	v_lshrrev_b32_e32 v6, 16, v6
	s_wait_alu 0xfffd
	v_cndmask_b32_e32 v16, v23, v16, vcc_lo
	v_add_co_u32 v3, vcc_lo, v3, s18
	s_wait_alu 0xfffd
	v_add_co_ci_u32_e32 v4, vcc_lo, s19, v4, vcc_lo
	s_delay_alu instid0(VALU_DEP_3) | instskip(SKIP_3) | instid1(VALU_DEP_4)
	v_and_b32_e32 v23, 7, v16
	v_cmp_eq_u32_e32 vcc_lo, 0x40f, v17
	v_lshlrev_b32_e32 v22, v22, v25
	v_mul_f64_e32 v[7:8], s[22:23], v[7:8]
	v_cmp_eq_u32_e64 s0, 3, v23
	s_wait_alu 0xfffd
	v_cndmask_b32_e32 v17, v18, v11, vcc_lo
	v_cmp_lt_i32_e32 vcc_lo, 5, v23
	v_lshrrev_b32_e32 v11, 2, v16
	v_cmp_ne_u32_e64 s1, v22, v24
	v_lshrrev_b32_e32 v18, 16, v12
	v_add_nc_u32_e32 v16, 0xfffffc10, v21
	s_or_b32 vcc_lo, s0, vcc_lo
	v_and_or_b32 v1, 0x1ff, v2, v1
	s_wait_alu 0xfffe
	v_add_co_ci_u32_e32 v11, vcc_lo, 0, v11, vcc_lo
	v_cmp_ne_u32_e32 vcc_lo, 0, v9
	v_cndmask_b32_e64 v12, 0, 1, s1
	v_lshl_or_b32 v21, v16, 12, v5
	v_bfe_u32 v23, v2, 20, 11
	v_and_or_b32 v17, 0x8000, v18, v17
	s_wait_alu 0xfffd
	v_cndmask_b32_e64 v9, 0, 1, vcc_lo
	v_cmp_gt_i32_e32 vcc_lo, 31, v19
	v_or_b32_e32 v20, v25, v12
	v_and_b32_e32 v17, 0xffff, v17
	s_delay_alu instid0(VALU_DEP_4)
	v_lshl_or_b32 v9, v9, 9, 0x7c00
	s_wait_alu 0xfffd
	v_cndmask_b32_e32 v22, 0x7c00, v11, vcc_lo
	v_mul_f64_e32 v[11:12], s[22:23], v[13:14]
	v_add_co_u32 v13, vcc_lo, v3, s18
	s_wait_alu 0xfffd
	v_add_co_ci_u32_e32 v14, vcc_lo, s19, v4, vcc_lo
	v_cmp_gt_i32_e32 vcc_lo, 1, v16
	s_wait_alu 0xfffd
	v_cndmask_b32_e32 v20, v21, v20, vcc_lo
	v_cmp_ne_u32_e32 vcc_lo, 0, v1
	v_lshrrev_b32_e32 v21, 8, v2
	v_lshrrev_b32_e32 v2, 16, v2
	v_and_or_b32 v7, 0x1ff, v8, v7
	s_wait_alu 0xfffd
	v_cndmask_b32_e64 v1, 0, 1, vcc_lo
	v_cmp_eq_u32_e32 vcc_lo, 0x40f, v19
	v_and_b32_e32 v19, 7, v20
	s_delay_alu instid0(VALU_DEP_3)
	v_and_or_b32 v1, 0xffe, v21, v1
	s_wait_alu 0xfffd
	v_cndmask_b32_e32 v9, v22, v9, vcc_lo
	v_sub_nc_u32_e32 v21, 0x3f1, v23
	v_cmp_lt_i32_e32 vcc_lo, 5, v19
	v_cmp_eq_u32_e64 s0, 3, v19
	v_lshrrev_b32_e32 v19, 2, v20
	v_and_or_b32 v9, 0x8000, v10, v9
	v_or_b32_e32 v10, 0x1000, v1
	v_med3_i32 v18, v21, 0, 13
	s_or_b32 vcc_lo, s0, vcc_lo
	v_lshrrev_b32_e32 v21, 8, v8
	s_wait_alu 0xfffe
	v_add_co_ci_u32_e32 v19, vcc_lo, 0, v19, vcc_lo
	v_lshrrev_b32_e32 v20, v18, v10
	v_cmp_ne_u32_e32 vcc_lo, 0, v7
	v_bfe_u32 v22, v8, 20, 11
	v_lshrrev_b32_e32 v8, 16, v8
	v_and_or_b32 v11, 0x1ff, v12, v11
	v_lshlrev_b32_e32 v18, v18, v20
	s_wait_alu 0xfffd
	v_cndmask_b32_e64 v7, 0, 1, vcc_lo
	v_cmp_ne_u32_e32 vcc_lo, 0, v5
	v_lshrrev_b32_e32 v24, 8, v12
	v_bfe_u32 v25, v12, 20, 11
	v_lshl_or_b32 v9, v9, 16, v17
	v_and_or_b32 v7, 0xffe, v21, v7
	s_wait_alu 0xfffd
	v_cndmask_b32_e64 v5, 0, 1, vcc_lo
	v_cmp_ne_u32_e32 vcc_lo, v18, v10
	v_sub_nc_u32_e32 v21, 0x3f1, v22
	v_add_nc_u32_e32 v18, 0xfffffc10, v23
	v_or_b32_e32 v23, 0x1000, v7
	v_lshl_or_b32 v5, v5, 9, 0x7c00
	s_wait_alu 0xfffd
	v_cndmask_b32_e64 v10, 0, 1, vcc_lo
	v_cmp_gt_i32_e32 vcc_lo, 31, v16
	v_med3_i32 v21, v21, 0, 13
	s_delay_alu instid0(VALU_DEP_3)
	v_or_b32_e32 v10, v20, v10
	s_wait_alu 0xfffd
	v_cndmask_b32_e32 v19, 0x7c00, v19, vcc_lo
	v_cmp_ne_u32_e32 vcc_lo, 0, v11
	v_lshl_or_b32 v20, v18, 12, v1
	v_lshrrev_b32_e32 v26, v21, v23
	s_wait_alu 0xfffd
	v_cndmask_b32_e64 v11, 0, 1, vcc_lo
	v_cmp_gt_i32_e32 vcc_lo, 1, v18
	s_delay_alu instid0(VALU_DEP_2)
	v_and_or_b32 v11, 0xffe, v24, v11
	v_sub_nc_u32_e32 v24, 0x3f1, v25
	s_wait_alu 0xfffd
	v_cndmask_b32_e32 v10, v20, v10, vcc_lo
	v_lshlrev_b32_e32 v20, v21, v26
	v_cmp_eq_u32_e32 vcc_lo, 0x40f, v16
	v_or_b32_e32 v21, 0x1000, v11
	v_med3_i32 v24, v24, 0, 13
	v_and_b32_e32 v27, 7, v10
	v_lshrrev_b32_e32 v10, 2, v10
	s_wait_alu 0xfffd
	v_cndmask_b32_e32 v5, v19, v5, vcc_lo
	v_cmp_ne_u32_e32 vcc_lo, v20, v23
	v_add_nc_u32_e32 v19, 0xfffffc10, v22
	v_lshrrev_b32_e32 v20, v24, v21
	v_cmp_eq_u32_e64 s0, 3, v27
	v_and_or_b32 v5, 0x8000, v6, v5
	s_wait_alu 0xfffd
	v_cndmask_b32_e64 v16, 0, 1, vcc_lo
	v_lshl_or_b32 v22, v19, 12, v7
	v_lshlrev_b32_e32 v23, v24, v20
	v_cmp_gt_i32_e64 s1, 1, v19
	v_cmp_lt_i32_e32 vcc_lo, 5, v27
	v_or_b32_e32 v16, v26, v16
	v_and_b32_e32 v5, 0xffff, v5
	s_or_b32 vcc_lo, s0, vcc_lo
	s_delay_alu instid0(VALU_DEP_2)
	v_cndmask_b32_e64 v16, v22, v16, s1
	v_cmp_ne_u32_e64 s1, v23, v21
	v_add_nc_u32_e32 v22, 0xfffffc10, v25
	s_wait_alu 0xfffe
	v_add_co_ci_u32_e32 v10, vcc_lo, 0, v10, vcc_lo
	v_and_b32_e32 v23, 7, v16
	s_wait_alu 0xf1ff
	v_cndmask_b32_e64 v21, 0, 1, s1
	v_cmp_ne_u32_e32 vcc_lo, 0, v1
	v_cmp_gt_i32_e64 s0, 1, v22
	v_lshrrev_b32_e32 v16, 2, v16
	v_cmp_gt_i32_e64 s1, 31, v18
	v_or_b32_e32 v20, v20, v21
	v_lshl_or_b32 v21, v22, 12, v11
	s_wait_alu 0xfffd
	v_cndmask_b32_e64 v1, 0, 1, vcc_lo
	v_cmp_lt_i32_e32 vcc_lo, 5, v23
	s_wait_alu 0xf1ff
	v_cndmask_b32_e64 v10, 0x7c00, v10, s1
	v_cmp_eq_u32_e64 s1, 0x40f, v18
	v_cndmask_b32_e64 v6, v21, v20, s0
	v_cmp_eq_u32_e64 s0, 3, v23
	v_lshl_or_b32 v1, v1, 9, 0x7c00
	s_delay_alu instid0(VALU_DEP_3) | instskip(NEXT) | instid1(VALU_DEP_3)
	v_and_b32_e32 v20, 7, v6
	s_or_b32 vcc_lo, s0, vcc_lo
	v_lshrrev_b32_e32 v6, 2, v6
	s_wait_alu 0xfffe
	v_add_co_ci_u32_e32 v16, vcc_lo, 0, v16, vcc_lo
	v_cmp_ne_u32_e32 vcc_lo, 0, v7
	v_cmp_eq_u32_e64 s0, 3, v20
	v_cndmask_b32_e64 v1, v10, v1, s1
	v_cmp_gt_i32_e64 s1, 31, v19
	s_wait_alu 0xfffd
	v_cndmask_b32_e64 v7, 0, 1, vcc_lo
	v_cmp_lt_i32_e32 vcc_lo, 5, v20
	s_wait_alu 0xf1ff
	v_cndmask_b32_e64 v10, 0x7c00, v16, s1
	s_delay_alu instid0(VALU_DEP_3)
	v_lshl_or_b32 v7, v7, 9, 0x7c00
	s_or_b32 vcc_lo, s0, vcc_lo
	s_wait_alu 0xfffe
	v_add_co_ci_u32_e32 v6, vcc_lo, 0, v6, vcc_lo
	v_cmp_ne_u32_e32 vcc_lo, 0, v11
	s_wait_alu 0xfffd
	v_cndmask_b32_e64 v11, 0, 1, vcc_lo
	v_cmp_eq_u32_e32 vcc_lo, 0x40f, v19
	s_wait_alu 0xfffd
	v_cndmask_b32_e32 v7, v10, v7, vcc_lo
	v_cmp_gt_i32_e32 vcc_lo, 31, v22
	v_lshl_or_b32 v10, v11, 9, 0x7c00
	v_and_or_b32 v11, 0x8000, v2, v1
	s_delay_alu instid0(VALU_DEP_4)
	v_and_or_b32 v7, 0x8000, v8, v7
	s_wait_alu 0xfffd
	v_cndmask_b32_e32 v6, 0x7c00, v6, vcc_lo
	v_cmp_eq_u32_e32 vcc_lo, 0x40f, v22
	v_lshrrev_b32_e32 v8, 16, v12
	s_wait_alu 0xfffd
	s_delay_alu instid0(VALU_DEP_3)
	v_dual_cndmask_b32 v6, v6, v10 :: v_dual_and_b32 v7, 0xffff, v7
	v_add_co_u32 v1, vcc_lo, v13, s2
	s_wait_alu 0xfffd
	v_add_co_ci_u32_e32 v2, vcc_lo, s3, v14, vcc_lo
	v_lshl_or_b32 v10, v11, 16, v5
	v_and_or_b32 v8, 0x8000, v8, v6
	v_add_co_u32 v5, vcc_lo, v1, s18
	s_wait_alu 0xfffd
	v_add_co_ci_u32_e32 v6, vcc_lo, s19, v2, vcc_lo
	s_delay_alu instid0(VALU_DEP_3) | instskip(NEXT) | instid1(VALU_DEP_3)
	v_lshl_or_b32 v11, v8, 16, v7
	v_add_co_u32 v7, vcc_lo, v5, s18
	s_wait_alu 0xfffd
	s_delay_alu instid0(VALU_DEP_3)
	v_add_co_ci_u32_e32 v8, vcc_lo, s19, v6, vcc_lo
	global_store_b32 v[3:4], v0, off
	global_store_b32 v[13:14], v15, off
	;; [unrolled: 1-line block ×5, first 2 shown]
.LBB0_2:
	s_nop 0
	s_sendmsg sendmsg(MSG_DEALLOC_VGPRS)
	s_endpgm
	.section	.rodata,"a",@progbits
	.p2align	6, 0x0
	.amdhsa_kernel bluestein_single_fwd_len2025_dim1_half_op_CI_CI
		.amdhsa_group_segment_fixed_size 8100
		.amdhsa_private_segment_fixed_size 0
		.amdhsa_kernarg_size 104
		.amdhsa_user_sgpr_count 2
		.amdhsa_user_sgpr_dispatch_ptr 0
		.amdhsa_user_sgpr_queue_ptr 0
		.amdhsa_user_sgpr_kernarg_segment_ptr 1
		.amdhsa_user_sgpr_dispatch_id 0
		.amdhsa_user_sgpr_private_segment_size 0
		.amdhsa_wavefront_size32 1
		.amdhsa_uses_dynamic_stack 0
		.amdhsa_enable_private_segment 0
		.amdhsa_system_sgpr_workgroup_id_x 1
		.amdhsa_system_sgpr_workgroup_id_y 0
		.amdhsa_system_sgpr_workgroup_id_z 0
		.amdhsa_system_sgpr_workgroup_info 0
		.amdhsa_system_vgpr_workitem_id 0
		.amdhsa_next_free_vgpr 211
		.amdhsa_next_free_sgpr 24
		.amdhsa_reserve_vcc 1
		.amdhsa_float_round_mode_32 0
		.amdhsa_float_round_mode_16_64 0
		.amdhsa_float_denorm_mode_32 3
		.amdhsa_float_denorm_mode_16_64 3
		.amdhsa_fp16_overflow 0
		.amdhsa_workgroup_processor_mode 1
		.amdhsa_memory_ordered 1
		.amdhsa_forward_progress 0
		.amdhsa_round_robin_scheduling 0
		.amdhsa_exception_fp_ieee_invalid_op 0
		.amdhsa_exception_fp_denorm_src 0
		.amdhsa_exception_fp_ieee_div_zero 0
		.amdhsa_exception_fp_ieee_overflow 0
		.amdhsa_exception_fp_ieee_underflow 0
		.amdhsa_exception_fp_ieee_inexact 0
		.amdhsa_exception_int_div_zero 0
	.end_amdhsa_kernel
	.text
.Lfunc_end0:
	.size	bluestein_single_fwd_len2025_dim1_half_op_CI_CI, .Lfunc_end0-bluestein_single_fwd_len2025_dim1_half_op_CI_CI
                                        ; -- End function
	.section	.AMDGPU.csdata,"",@progbits
; Kernel info:
; codeLenInByte = 31036
; NumSgprs: 26
; NumVgprs: 211
; ScratchSize: 0
; MemoryBound: 0
; FloatMode: 240
; IeeeMode: 1
; LDSByteSize: 8100 bytes/workgroup (compile time only)
; SGPRBlocks: 3
; VGPRBlocks: 26
; NumSGPRsForWavesPerEU: 26
; NumVGPRsForWavesPerEU: 211
; Occupancy: 7
; WaveLimiterHint : 1
; COMPUTE_PGM_RSRC2:SCRATCH_EN: 0
; COMPUTE_PGM_RSRC2:USER_SGPR: 2
; COMPUTE_PGM_RSRC2:TRAP_HANDLER: 0
; COMPUTE_PGM_RSRC2:TGID_X_EN: 1
; COMPUTE_PGM_RSRC2:TGID_Y_EN: 0
; COMPUTE_PGM_RSRC2:TGID_Z_EN: 0
; COMPUTE_PGM_RSRC2:TIDIG_COMP_CNT: 0
	.text
	.p2alignl 7, 3214868480
	.fill 96, 4, 3214868480
	.type	__hip_cuid_9e3a6cbc9d72a9a1,@object ; @__hip_cuid_9e3a6cbc9d72a9a1
	.section	.bss,"aw",@nobits
	.globl	__hip_cuid_9e3a6cbc9d72a9a1
__hip_cuid_9e3a6cbc9d72a9a1:
	.byte	0                               ; 0x0
	.size	__hip_cuid_9e3a6cbc9d72a9a1, 1

	.ident	"AMD clang version 19.0.0git (https://github.com/RadeonOpenCompute/llvm-project roc-6.4.0 25133 c7fe45cf4b819c5991fe208aaa96edf142730f1d)"
	.section	".note.GNU-stack","",@progbits
	.addrsig
	.addrsig_sym __hip_cuid_9e3a6cbc9d72a9a1
	.amdgpu_metadata
---
amdhsa.kernels:
  - .args:
      - .actual_access:  read_only
        .address_space:  global
        .offset:         0
        .size:           8
        .value_kind:     global_buffer
      - .actual_access:  read_only
        .address_space:  global
        .offset:         8
        .size:           8
        .value_kind:     global_buffer
      - .actual_access:  read_only
        .address_space:  global
        .offset:         16
        .size:           8
        .value_kind:     global_buffer
      - .actual_access:  read_only
        .address_space:  global
        .offset:         24
        .size:           8
        .value_kind:     global_buffer
      - .actual_access:  read_only
        .address_space:  global
        .offset:         32
        .size:           8
        .value_kind:     global_buffer
      - .offset:         40
        .size:           8
        .value_kind:     by_value
      - .address_space:  global
        .offset:         48
        .size:           8
        .value_kind:     global_buffer
      - .address_space:  global
        .offset:         56
        .size:           8
        .value_kind:     global_buffer
      - .address_space:  global
        .offset:         64
        .size:           8
        .value_kind:     global_buffer
      - .address_space:  global
        .offset:         72
        .size:           8
        .value_kind:     global_buffer
      - .offset:         80
        .size:           4
        .value_kind:     by_value
      - .address_space:  global
        .offset:         88
        .size:           8
        .value_kind:     global_buffer
      - .address_space:  global
        .offset:         96
        .size:           8
        .value_kind:     global_buffer
    .group_segment_fixed_size: 8100
    .kernarg_segment_align: 8
    .kernarg_segment_size: 104
    .language:       OpenCL C
    .language_version:
      - 2
      - 0
    .max_flat_workgroup_size: 135
    .name:           bluestein_single_fwd_len2025_dim1_half_op_CI_CI
    .private_segment_fixed_size: 0
    .sgpr_count:     26
    .sgpr_spill_count: 0
    .symbol:         bluestein_single_fwd_len2025_dim1_half_op_CI_CI.kd
    .uniform_work_group_size: 1
    .uses_dynamic_stack: false
    .vgpr_count:     211
    .vgpr_spill_count: 0
    .wavefront_size: 32
    .workgroup_processor_mode: 1
amdhsa.target:   amdgcn-amd-amdhsa--gfx1201
amdhsa.version:
  - 1
  - 2
...

	.end_amdgpu_metadata
